;; amdgpu-corpus repo=ROCm/rocFFT kind=compiled arch=gfx1030 opt=O3
	.text
	.amdgcn_target "amdgcn-amd-amdhsa--gfx1030"
	.amdhsa_code_object_version 6
	.protected	fft_rtc_fwd_len1326_factors_17_6_13_wgs_204_tpt_102_halfLds_half_ip_CI_unitstride_sbrr_dirReg ; -- Begin function fft_rtc_fwd_len1326_factors_17_6_13_wgs_204_tpt_102_halfLds_half_ip_CI_unitstride_sbrr_dirReg
	.globl	fft_rtc_fwd_len1326_factors_17_6_13_wgs_204_tpt_102_halfLds_half_ip_CI_unitstride_sbrr_dirReg
	.p2align	8
	.type	fft_rtc_fwd_len1326_factors_17_6_13_wgs_204_tpt_102_halfLds_half_ip_CI_unitstride_sbrr_dirReg,@function
fft_rtc_fwd_len1326_factors_17_6_13_wgs_204_tpt_102_halfLds_half_ip_CI_unitstride_sbrr_dirReg: ; @fft_rtc_fwd_len1326_factors_17_6_13_wgs_204_tpt_102_halfLds_half_ip_CI_unitstride_sbrr_dirReg
; %bb.0:
	s_clause 0x2
	s_load_dwordx4 s[8:11], s[4:5], 0x0
	s_load_dwordx2 s[2:3], s[4:5], 0x50
	s_load_dwordx2 s[12:13], s[4:5], 0x18
	v_mul_u32_u24_e32 v1, 0x283, v0
	v_mov_b32_e32 v3, 0
	v_lshrrev_b32_e32 v29, 16, v1
	v_mov_b32_e32 v1, 0
	v_mov_b32_e32 v6, v3
	v_mov_b32_e32 v2, 0
	v_lshl_add_u32 v5, s6, 1, v29
	s_waitcnt lgkmcnt(0)
	v_cmp_lt_u64_e64 s0, s[10:11], 2
	s_and_b32 vcc_lo, exec_lo, s0
	s_cbranch_vccnz .LBB0_8
; %bb.1:
	s_load_dwordx2 s[0:1], s[4:5], 0x10
	v_mov_b32_e32 v1, 0
	s_add_u32 s6, s12, 8
	v_mov_b32_e32 v2, 0
	s_addc_u32 s7, s13, 0
	s_mov_b64 s[16:17], 1
	s_waitcnt lgkmcnt(0)
	s_add_u32 s14, s0, 8
	s_addc_u32 s15, s1, 0
.LBB0_2:                                ; =>This Inner Loop Header: Depth=1
	s_load_dwordx2 s[18:19], s[14:15], 0x0
                                        ; implicit-def: $vgpr12_vgpr13
	s_mov_b32 s0, exec_lo
	s_waitcnt lgkmcnt(0)
	v_or_b32_e32 v4, s19, v6
	v_cmpx_ne_u64_e32 0, v[3:4]
	s_xor_b32 s1, exec_lo, s0
	s_cbranch_execz .LBB0_4
; %bb.3:                                ;   in Loop: Header=BB0_2 Depth=1
	v_cvt_f32_u32_e32 v4, s18
	v_cvt_f32_u32_e32 v7, s19
	s_sub_u32 s0, 0, s18
	s_subb_u32 s20, 0, s19
	v_fmac_f32_e32 v4, 0x4f800000, v7
	v_rcp_f32_e32 v4, v4
	v_mul_f32_e32 v4, 0x5f7ffffc, v4
	v_mul_f32_e32 v7, 0x2f800000, v4
	v_trunc_f32_e32 v7, v7
	v_fmac_f32_e32 v4, 0xcf800000, v7
	v_cvt_u32_f32_e32 v7, v7
	v_cvt_u32_f32_e32 v4, v4
	v_mul_lo_u32 v8, s0, v7
	v_mul_hi_u32 v9, s0, v4
	v_mul_lo_u32 v10, s20, v4
	v_add_nc_u32_e32 v8, v9, v8
	v_mul_lo_u32 v9, s0, v4
	v_add_nc_u32_e32 v8, v8, v10
	v_mul_hi_u32 v10, v4, v9
	v_mul_lo_u32 v11, v4, v8
	v_mul_hi_u32 v12, v4, v8
	v_mul_hi_u32 v13, v7, v9
	v_mul_lo_u32 v9, v7, v9
	v_mul_hi_u32 v14, v7, v8
	v_mul_lo_u32 v8, v7, v8
	v_add_co_u32 v10, vcc_lo, v10, v11
	v_add_co_ci_u32_e32 v11, vcc_lo, 0, v12, vcc_lo
	v_add_co_u32 v9, vcc_lo, v10, v9
	v_add_co_ci_u32_e32 v9, vcc_lo, v11, v13, vcc_lo
	v_add_co_ci_u32_e32 v10, vcc_lo, 0, v14, vcc_lo
	v_add_co_u32 v8, vcc_lo, v9, v8
	v_add_co_ci_u32_e32 v9, vcc_lo, 0, v10, vcc_lo
	v_add_co_u32 v4, vcc_lo, v4, v8
	v_add_co_ci_u32_e32 v7, vcc_lo, v7, v9, vcc_lo
	v_mul_hi_u32 v8, s0, v4
	v_mul_lo_u32 v10, s20, v4
	v_mul_lo_u32 v9, s0, v7
	v_add_nc_u32_e32 v8, v8, v9
	v_mul_lo_u32 v9, s0, v4
	v_add_nc_u32_e32 v8, v8, v10
	v_mul_hi_u32 v10, v4, v9
	v_mul_lo_u32 v11, v4, v8
	v_mul_hi_u32 v12, v4, v8
	v_mul_hi_u32 v13, v7, v9
	v_mul_lo_u32 v9, v7, v9
	v_mul_hi_u32 v14, v7, v8
	v_mul_lo_u32 v8, v7, v8
	v_add_co_u32 v10, vcc_lo, v10, v11
	v_add_co_ci_u32_e32 v11, vcc_lo, 0, v12, vcc_lo
	v_add_co_u32 v9, vcc_lo, v10, v9
	v_add_co_ci_u32_e32 v9, vcc_lo, v11, v13, vcc_lo
	v_add_co_ci_u32_e32 v10, vcc_lo, 0, v14, vcc_lo
	v_add_co_u32 v8, vcc_lo, v9, v8
	v_add_co_ci_u32_e32 v9, vcc_lo, 0, v10, vcc_lo
	v_add_co_u32 v4, vcc_lo, v4, v8
	v_add_co_ci_u32_e32 v11, vcc_lo, v7, v9, vcc_lo
	v_mul_hi_u32 v13, v5, v4
	v_mad_u64_u32 v[9:10], null, v6, v4, 0
	v_mad_u64_u32 v[7:8], null, v5, v11, 0
	;; [unrolled: 1-line block ×3, first 2 shown]
	v_add_co_u32 v4, vcc_lo, v13, v7
	v_add_co_ci_u32_e32 v7, vcc_lo, 0, v8, vcc_lo
	v_add_co_u32 v4, vcc_lo, v4, v9
	v_add_co_ci_u32_e32 v4, vcc_lo, v7, v10, vcc_lo
	v_add_co_ci_u32_e32 v7, vcc_lo, 0, v12, vcc_lo
	v_add_co_u32 v4, vcc_lo, v4, v11
	v_add_co_ci_u32_e32 v9, vcc_lo, 0, v7, vcc_lo
	v_mul_lo_u32 v10, s19, v4
	v_mad_u64_u32 v[7:8], null, s18, v4, 0
	v_mul_lo_u32 v11, s18, v9
	v_sub_co_u32 v7, vcc_lo, v5, v7
	v_add3_u32 v8, v8, v11, v10
	v_sub_nc_u32_e32 v10, v6, v8
	v_subrev_co_ci_u32_e64 v10, s0, s19, v10, vcc_lo
	v_add_co_u32 v11, s0, v4, 2
	v_add_co_ci_u32_e64 v12, s0, 0, v9, s0
	v_sub_co_u32 v13, s0, v7, s18
	v_sub_co_ci_u32_e32 v8, vcc_lo, v6, v8, vcc_lo
	v_subrev_co_ci_u32_e64 v10, s0, 0, v10, s0
	v_cmp_le_u32_e32 vcc_lo, s18, v13
	v_cmp_eq_u32_e64 s0, s19, v8
	v_cndmask_b32_e64 v13, 0, -1, vcc_lo
	v_cmp_le_u32_e32 vcc_lo, s19, v10
	v_cndmask_b32_e64 v14, 0, -1, vcc_lo
	v_cmp_le_u32_e32 vcc_lo, s18, v7
	;; [unrolled: 2-line block ×3, first 2 shown]
	v_cndmask_b32_e64 v15, 0, -1, vcc_lo
	v_cmp_eq_u32_e32 vcc_lo, s19, v10
	v_cndmask_b32_e64 v7, v15, v7, s0
	v_cndmask_b32_e32 v10, v14, v13, vcc_lo
	v_add_co_u32 v13, vcc_lo, v4, 1
	v_add_co_ci_u32_e32 v14, vcc_lo, 0, v9, vcc_lo
	v_cmp_ne_u32_e32 vcc_lo, 0, v10
	v_cndmask_b32_e32 v8, v14, v12, vcc_lo
	v_cndmask_b32_e32 v10, v13, v11, vcc_lo
	v_cmp_ne_u32_e32 vcc_lo, 0, v7
	v_cndmask_b32_e32 v13, v9, v8, vcc_lo
	v_cndmask_b32_e32 v12, v4, v10, vcc_lo
.LBB0_4:                                ;   in Loop: Header=BB0_2 Depth=1
	s_andn2_saveexec_b32 s0, s1
	s_cbranch_execz .LBB0_6
; %bb.5:                                ;   in Loop: Header=BB0_2 Depth=1
	v_cvt_f32_u32_e32 v4, s18
	s_sub_i32 s1, 0, s18
	v_mov_b32_e32 v13, v3
	v_rcp_iflag_f32_e32 v4, v4
	v_mul_f32_e32 v4, 0x4f7ffffe, v4
	v_cvt_u32_f32_e32 v4, v4
	v_mul_lo_u32 v7, s1, v4
	v_mul_hi_u32 v7, v4, v7
	v_add_nc_u32_e32 v4, v4, v7
	v_mul_hi_u32 v4, v5, v4
	v_mul_lo_u32 v7, v4, s18
	v_add_nc_u32_e32 v8, 1, v4
	v_sub_nc_u32_e32 v7, v5, v7
	v_subrev_nc_u32_e32 v9, s18, v7
	v_cmp_le_u32_e32 vcc_lo, s18, v7
	v_cndmask_b32_e32 v7, v7, v9, vcc_lo
	v_cndmask_b32_e32 v4, v4, v8, vcc_lo
	v_cmp_le_u32_e32 vcc_lo, s18, v7
	v_add_nc_u32_e32 v8, 1, v4
	v_cndmask_b32_e32 v12, v4, v8, vcc_lo
.LBB0_6:                                ;   in Loop: Header=BB0_2 Depth=1
	s_or_b32 exec_lo, exec_lo, s0
	s_load_dwordx2 s[0:1], s[6:7], 0x0
	v_mul_lo_u32 v4, v13, s18
	v_mul_lo_u32 v9, v12, s19
	v_mad_u64_u32 v[7:8], null, v12, s18, 0
	s_add_u32 s16, s16, 1
	s_addc_u32 s17, s17, 0
	s_add_u32 s6, s6, 8
	s_addc_u32 s7, s7, 0
	;; [unrolled: 2-line block ×3, first 2 shown]
	v_add3_u32 v4, v8, v9, v4
	v_sub_co_u32 v5, vcc_lo, v5, v7
	v_sub_co_ci_u32_e32 v4, vcc_lo, v6, v4, vcc_lo
	s_waitcnt lgkmcnt(0)
	v_mul_lo_u32 v6, s1, v5
	v_mul_lo_u32 v4, s0, v4
	v_mad_u64_u32 v[1:2], null, s0, v5, v[1:2]
	v_cmp_ge_u64_e64 s0, s[16:17], s[10:11]
	s_and_b32 vcc_lo, exec_lo, s0
	v_add3_u32 v2, v6, v2, v4
	s_cbranch_vccnz .LBB0_9
; %bb.7:                                ;   in Loop: Header=BB0_2 Depth=1
	v_mov_b32_e32 v5, v12
	v_mov_b32_e32 v6, v13
	s_branch .LBB0_2
.LBB0_8:
	v_mov_b32_e32 v13, v6
	v_mov_b32_e32 v12, v5
.LBB0_9:
	s_lshl_b64 s[0:1], s[10:11], 3
	v_mul_hi_u32 v3, 0x2828283, v0
	s_add_u32 s0, s12, s0
	s_addc_u32 s1, s13, s1
	v_mov_b32_e32 v10, 0
	s_load_dwordx2 s[0:1], s[0:1], 0x0
	s_load_dwordx2 s[4:5], s[4:5], 0x20
	v_mov_b32_e32 v15, 0
                                        ; implicit-def: $vgpr28
                                        ; implicit-def: $vgpr50
                                        ; implicit-def: $vgpr27
                                        ; implicit-def: $vgpr49
                                        ; implicit-def: $vgpr26
                                        ; implicit-def: $vgpr47
                                        ; implicit-def: $vgpr25
                                        ; implicit-def: $vgpr41
                                        ; implicit-def: $vgpr24
                                        ; implicit-def: $vgpr38
                                        ; implicit-def: $vgpr23
                                        ; implicit-def: $vgpr36
                                        ; implicit-def: $vgpr22
                                        ; implicit-def: $vgpr6
                                        ; implicit-def: $vgpr21
                                        ; implicit-def: $vgpr54
                                        ; implicit-def: $vgpr14
                                        ; implicit-def: $vgpr53
                                        ; implicit-def: $vgpr16
                                        ; implicit-def: $vgpr52
                                        ; implicit-def: $vgpr17
                                        ; implicit-def: $vgpr51
                                        ; implicit-def: $vgpr18
                                        ; implicit-def: $vgpr48
                                        ; implicit-def: $vgpr19
                                        ; implicit-def: $vgpr46
                                        ; implicit-def: $vgpr20
                                        ; implicit-def: $vgpr44
                                        ; implicit-def: $vgpr7
	s_waitcnt lgkmcnt(0)
	v_mul_lo_u32 v4, s0, v13
	v_mul_lo_u32 v5, s1, v12
	v_mad_u64_u32 v[8:9], null, s0, v12, v[1:2]
	v_mul_u32_u24_e32 v2, 0x66, v3
	v_cmp_gt_u64_e32 vcc_lo, s[4:5], v[12:13]
	v_mov_b32_e32 v1, 0
	v_sub_nc_u32_e32 v11, v0, v2
	v_add3_u32 v9, v5, v9, v4
                                        ; implicit-def: $vgpr5
                                        ; implicit-def: $vgpr4
	s_and_saveexec_b32 s1, vcc_lo
	s_cbranch_execz .LBB0_13
; %bb.10:
	v_cmp_gt_u32_e64 s0, 0x4e, v11
	v_mov_b32_e32 v15, 0
	v_mov_b32_e32 v1, 0
                                        ; implicit-def: $vgpr7
                                        ; implicit-def: $vgpr44
                                        ; implicit-def: $vgpr20
                                        ; implicit-def: $vgpr46
                                        ; implicit-def: $vgpr19
                                        ; implicit-def: $vgpr48
                                        ; implicit-def: $vgpr18
                                        ; implicit-def: $vgpr51
                                        ; implicit-def: $vgpr17
                                        ; implicit-def: $vgpr52
                                        ; implicit-def: $vgpr16
                                        ; implicit-def: $vgpr53
                                        ; implicit-def: $vgpr14
                                        ; implicit-def: $vgpr54
                                        ; implicit-def: $vgpr4
                                        ; implicit-def: $vgpr5
                                        ; implicit-def: $vgpr21
                                        ; implicit-def: $vgpr6
                                        ; implicit-def: $vgpr22
                                        ; implicit-def: $vgpr36
                                        ; implicit-def: $vgpr23
                                        ; implicit-def: $vgpr38
                                        ; implicit-def: $vgpr24
                                        ; implicit-def: $vgpr41
                                        ; implicit-def: $vgpr25
                                        ; implicit-def: $vgpr47
                                        ; implicit-def: $vgpr26
                                        ; implicit-def: $vgpr49
                                        ; implicit-def: $vgpr27
                                        ; implicit-def: $vgpr50
                                        ; implicit-def: $vgpr28
	s_and_saveexec_b32 s4, s0
	s_cbranch_execz .LBB0_12
; %bb.11:
	v_mov_b32_e32 v12, 0
	v_lshlrev_b64 v[0:1], 2, v[8:9]
	v_lshlrev_b64 v[2:3], 2, v[11:12]
	v_add_co_u32 v0, s0, s2, v0
	v_add_co_ci_u32_e64 v1, s0, s3, v1, s0
	v_add_co_u32 v2, s0, v0, v2
	v_add_co_ci_u32_e64 v3, s0, v1, v3, s0
	;; [unrolled: 2-line block ×3, first 2 shown]
	s_clause 0x8
	global_load_dword v1, v[2:3], off
	global_load_dword v50, v[2:3], off offset:312
	global_load_dword v49, v[2:3], off offset:624
	;; [unrolled: 1-line block ×8, first 2 shown]
	v_add_co_u32 v2, s0, 0x1000, v2
	v_add_co_ci_u32_e64 v3, s0, 0, v3, s0
	s_clause 0x7
	global_load_dword v44, v[12:13], off offset:1072
	global_load_dword v46, v[12:13], off offset:1384
	;; [unrolled: 1-line block ×8, first 2 shown]
	s_waitcnt vmcnt(15)
	v_lshrrev_b32_e32 v28, 16, v50
	s_waitcnt vmcnt(14)
	v_lshrrev_b32_e32 v27, 16, v49
	s_waitcnt vmcnt(13)
	v_lshrrev_b32_e32 v26, 16, v47
	s_waitcnt vmcnt(12)
	v_lshrrev_b32_e32 v25, 16, v41
	s_waitcnt vmcnt(11)
	v_lshrrev_b32_e32 v24, 16, v38
	s_waitcnt vmcnt(10)
	v_lshrrev_b32_e32 v23, 16, v36
	s_waitcnt vmcnt(9)
	v_lshrrev_b32_e32 v22, 16, v6
	s_waitcnt vmcnt(8)
	v_lshrrev_b32_e32 v21, 16, v5
	s_waitcnt vmcnt(7)
	v_lshrrev_b32_e32 v20, 16, v44
	s_waitcnt vmcnt(6)
	v_lshrrev_b32_e32 v19, 16, v46
	s_waitcnt vmcnt(5)
	v_lshrrev_b32_e32 v18, 16, v48
	s_waitcnt vmcnt(4)
	v_lshrrev_b32_e32 v17, 16, v51
	s_waitcnt vmcnt(3)
	v_lshrrev_b32_e32 v16, 16, v52
	s_waitcnt vmcnt(2)
	v_lshrrev_b32_e32 v14, 16, v53
	s_waitcnt vmcnt(1)
	v_lshrrev_b32_e32 v4, 16, v54
	s_waitcnt vmcnt(0)
	v_perm_b32 v15, v1, v7, 0x7060302
.LBB0_12:
	s_or_b32 exec_lo, exec_lo, s4
	v_mov_b32_e32 v10, v11
.LBB0_13:
	s_or_b32 exec_lo, exec_lo, s1
	v_add_f16_e32 v74, v50, v54
	v_sub_f16_e32 v0, v28, v4
	v_add_f16_e32 v73, v49, v53
	v_sub_f16_e32 v30, v27, v14
	v_add_f16_e32 v77, v47, v52
	v_pk_mul_f16 v55, 0x3b7639e9, v74 op_sel_hi:[1,0]
	v_sub_f16_e32 v31, v26, v16
	v_pk_mul_f16 v60, 0x39e92de8, v73 op_sel_hi:[1,0]
	v_add_f16_e32 v75, v41, v51
	v_pk_mul_f16 v58, 0x3722b8d2, v77 op_sel_hi:[1,0]
	v_pk_fma_f16 v2, 0xb5c8b964, v0, v55 op_sel_hi:[1,0,1]
	v_pk_mul_f16 v42, 0x37222de8, v74 op_sel_hi:[1,0]
	v_pk_fma_f16 v3, 0xb964bbf7, v30, v60 op_sel_hi:[1,0,1]
	v_sub_f16_e32 v32, v25, v17
	v_add_f16_e32 v76, v38, v48
	v_pk_add_f16 v2, v1, v2 op_sel_hi:[0,1]
	v_pk_mul_f16 v56, 0x2de8bbdd, v75 op_sel_hi:[1,0]
	v_pk_fma_f16 v12, 0xbb29ba62, v31, v58 op_sel_hi:[1,0,1]
	v_pk_mul_f16 v57, 0xb8d2bbdd, v73 op_sel_hi:[1,0]
	v_sub_f16_e32 v33, v24, v18
	v_pk_add_f16 v2, v2, v3
	v_pk_fma_f16 v3, 0xbb29bbf7, v0, v42 op_sel_hi:[1,0,1]
	v_pk_mul_f16 v43, 0xb461bacd, v76 op_sel_hi:[1,0]
	v_pk_mul_f16 v45, 0xbbddb461, v77 op_sel_hi:[1,0]
	v_pk_fma_f16 v13, 0xbbf7b1e1, v32, v56 op_sel_hi:[1,0,1]
	v_pk_add_f16 v2, v2, v12
	v_add_f16_e32 v80, v36, v46
	v_pk_fma_f16 v12, 0xba62b1e1, v30, v57 op_sel_hi:[1,0,1]
	v_pk_add_f16 v3, v1, v3 op_sel_hi:[0,1]
	v_pk_fma_f16 v34, 0xbbb23836, v33, v43 op_sel_hi:[1,0,1]
	v_sub_f16_e32 v40, v23, v19
	v_pk_mul_f16 v64, 0xb8d2b461, v80 op_sel_hi:[1,0]
	v_pk_add_f16 v2, v2, v13
	v_pk_add_f16 v3, v3, v12
	v_pk_fma_f16 v12, 0x31e13bb2, v31, v45 op_sel_hi:[1,0,1]
	v_mul_f16_e32 v63, 0xb461, v74
	v_pk_fma_f16 v13, 0xba623bb2, v40, v64 op_sel_hi:[1,0,1]
	v_pk_add_f16 v2, v2, v34
	v_pk_mul_f16 v70, 0xb4613b76, v75 op_sel_hi:[1,0]
	v_pk_add_f16 v3, v3, v12
	v_fmamk_f16 v12, v0, 0xbbb2, v63
	v_mul_f16_e32 v62, 0xbacd, v73
	v_pk_add_f16 v2, v2, v13
	v_pk_fma_f16 v13, 0x3bb235c8, v32, v70 op_sel_hi:[1,0,1]
	v_pk_mul_f16 v69, 0x39e93722, v76 op_sel_hi:[1,0]
	v_add_f16_e32 v12, v1, v12
	v_fmamk_f16 v34, v30, 0x3836, v62
	v_mul_f16_e32 v61, 0x39e9, v77
	v_add_f16_e32 v79, v6, v44
	v_pk_add_f16 v3, v3, v13
	v_pk_fma_f16 v13, 0x3964bb29, v33, v69 op_sel_hi:[1,0,1]
	v_pk_mul_f16 v66, 0x3b76bacd, v80 op_sel_hi:[1,0]
	v_add_f16_e32 v12, v12, v34
	v_fmamk_f16 v34, v31, 0x3964, v61
	v_mul_f16_e32 v59, 0x3722, v75
	v_sub_f16_e32 v68, v22, v20
	v_pk_mul_f16 v65, 0xbacd3722, v79 op_sel_hi:[1,0]
	v_pk_add_f16 v3, v3, v13
	v_pk_fma_f16 v13, 0xb5c8b836, v40, v66 op_sel_hi:[1,0,1]
	v_pk_mul_f16 v67, 0x2de8b8d2, v79 op_sel_hi:[1,0]
	v_add_f16_e32 v12, v12, v34
	v_fmamk_f16 v34, v32, 0xbb29, v59
	v_mul_f16_e32 v39, 0xbbdd, v76
	v_pk_fma_f16 v35, 0xb8363b29, v68, v65 op_sel_hi:[1,0,1]
	v_pk_add_f16 v3, v3, v13
	v_pk_fma_f16 v13, 0xbbf73a62, v68, v67 op_sel_hi:[1,0,1]
	v_add_f16_e32 v12, v12, v34
	v_fmamk_f16 v34, v33, 0xb1e1, v39
	v_mul_f16_e32 v37, 0x2de8, v80
	v_pk_add_f16 v2, v2, v35
	v_pk_add_f16 v13, v3, v13
	v_add_f16_e32 v81, v5, v7
	v_add_f16_e32 v3, v12, v34
	v_fmamk_f16 v12, v40, 0x3bf7, v37
	v_mul_f16_e32 v35, 0x3b76, v79
	v_and_b32_e32 v29, 1, v29
	v_sub_f16_e32 v78, v21, v15
	v_pk_mul_f16 v72, 0xbbdd3b76, v81 op_sel_hi:[1,0]
	v_pk_mul_f16 v71, 0xbacd39e9, v81 op_sel_hi:[1,0]
	v_add_f16_e32 v3, v3, v12
	v_fmamk_f16 v12, v68, 0xb5c8, v35
	v_mul_f16_e32 v34, 0xb8d2, v81
	v_cmp_eq_u32_e64 s0, 1, v29
	v_pk_fma_f16 v82, 0xb1e135c8, v78, v72 op_sel_hi:[1,0,1]
	v_pk_fma_f16 v83, 0xb8363964, v78, v71 op_sel_hi:[1,0,1]
	v_add_f16_e32 v12, v3, v12
	v_fmamk_f16 v84, v78, 0xba62, v34
	v_cndmask_b32_e64 v29, 0, 0x52e, s0
	v_pk_add_f16 v3, v2, v82
	v_pk_add_f16 v2, v13, v83
	v_cmp_gt_u32_e64 s1, 0x4e, v11
	v_add_f16_e32 v13, v12, v84
	v_lshlrev_b32_e32 v12, 1, v29
	s_and_saveexec_b32 s0, s1
	s_cbranch_execz .LBB0_15
; %bb.14:
	v_mul_f16_e32 v88, 0xb8d2, v74
	v_perm_b32 v91, v1, v1, 0x5040100
	v_pk_mul_f16 v90, 0xb5c8b964, v0 op_sel_hi:[1,0]
	v_mul_f16_e32 v93, 0xb461, v73
	v_pk_mul_f16 v95, 0xb964bbf7, v30 op_sel_hi:[1,0]
	v_fmamk_f16 v92, v0, 0xba62, v88
	v_mul_f16_e32 v97, 0x3b76, v77
	v_pk_mul_f16 v102, 0xbbf7b1e1, v32 op_sel_hi:[1,0]
	v_fmamk_f16 v96, v30, 0x3bb2, v93
	v_pk_add_f16 v55, v55, v90 neg_lo:[0,1] neg_hi:[0,1]
	v_add_f16_e32 v92, v1, v92
	v_add_f16_e32 v1, v1, v50
	v_pk_mul_f16 v99, 0xbb29ba62, v31 op_sel_hi:[1,0]
	v_mul_f16_e32 v100, 0xbacd, v75
	v_pk_add_f16 v60, v60, v95 neg_lo:[0,1] neg_hi:[0,1]
	v_add_f16_e32 v92, v92, v96
	v_add_f16_e32 v1, v1, v49
	v_fmamk_f16 v96, v31, 0xb5c8, v97
	v_pk_add_f16 v55, v91, v55
	v_pk_add_f16 v56, v56, v102 neg_lo:[0,1] neg_hi:[0,1]
	v_pk_mul_f16 v102, 0xbb29bbf7, v0 op_sel_hi:[1,0]
	v_add_f16_e32 v1, v1, v47
	v_add_f16_e32 v92, v92, v96
	v_fmamk_f16 v96, v32, 0xb836, v100
	v_pack_b32_f16 v103, v76, v76
	v_mul_f16_e32 v76, 0x2de8, v76
	v_add_f16_e32 v1, v1, v41
	v_pk_mul_f16 v105, 0xbbb23836, v33 op_sel_hi:[1,0]
	v_pk_add_f16 v55, v55, v60
	v_pk_add_f16 v58, v58, v99 neg_lo:[0,1] neg_hi:[0,1]
	v_pk_add_f16 v42, v42, v102 neg_lo:[0,1] neg_hi:[0,1]
	v_add_f16_e32 v1, v1, v38
	v_pk_mul_f16 v102, 0xba62b1e1, v30 op_sel_hi:[1,0]
	v_add_f16_e32 v92, v92, v96
	v_fmamk_f16 v96, v33, 0x3bf7, v76
	v_pack_b32_f16 v106, v80, v80
	v_add_f16_e32 v1, v1, v36
	v_mul_f16_e32 v80, 0x39e9, v80
	v_pk_add_f16 v55, v55, v58
	v_pk_add_f16 v43, v43, v105 neg_lo:[0,1] neg_hi:[0,1]
	v_pk_mul_f16 v105, 0x31e13bb2, v31 op_sel_hi:[1,0]
	v_add_f16_e32 v1, v1, v6
	v_pk_add_f16 v42, v91, v42
	v_pk_add_f16 v57, v57, v102 neg_lo:[0,1] neg_hi:[0,1]
	v_add_f16_e32 v92, v92, v96
	v_fmamk_f16 v90, v40, 0xb964, v80
	v_add_f16_e32 v1, v1, v5
	v_mul_f16_e32 v95, 0xbbdd, v79
	v_pk_add_f16 v55, v55, v56
	v_pk_mul_f16 v102, 0x3bb235c8, v32 op_sel_hi:[1,0]
	v_pk_add_f16 v42, v42, v57
	v_add_f16_e32 v1, v1, v7
	v_pk_add_f16 v45, v45, v105 neg_lo:[0,1] neg_hi:[0,1]
	v_mul_f16_e32 v29, 0xbbb2, v0
	v_pack_b32_f16 v89, v0, v0
	v_pk_mul_f16 v96, 0xba623bb2, v40 op_sel_hi:[1,0]
	v_add_f16_e32 v1, v44, v1
	v_add_f16_e32 v90, v92, v90
	v_fmamk_f16 v92, v68, 0xb1e1, v95
	v_pk_add_f16 v43, v55, v43
	v_pk_mul_f16 v55, 0x3964bb29, v33 op_sel_hi:[1,0]
	v_add_f16_e32 v1, v46, v1
	v_pk_add_f16 v42, v42, v45
	v_mul_f16_e32 v0, 0xba62, v0
	v_pk_add_f16 v70, v70, v102 neg_lo:[0,1] neg_hi:[0,1]
	v_mul_f16_e32 v82, 0x3836, v30
	v_add_f16_e32 v1, v48, v1
	v_pack_b32_f16 v94, v30, v30
	v_add_f16_e32 v90, v90, v92
	v_pk_mul_f16 v92, 0xb8363b29, v68 op_sel_hi:[1,0]
	v_pk_add_f16 v64, v64, v96 neg_lo:[0,1] neg_hi:[0,1]
	v_add_f16_e32 v1, v51, v1
	v_mul_f16_e32 v30, 0x3bb2, v30
	v_perm_b32 v0, v0, v29, 0x5040100
	v_mul_f16_e32 v83, 0x3964, v31
	v_pack_b32_f16 v98, v31, v31
	v_add_f16_e32 v1, v52, v1
	v_pk_mul_f16 v57, 0xb5c8b836, v40 op_sel_hi:[1,0]
	v_mul_f16_e32 v31, 0xb5c8, v31
	v_pk_add_f16 v29, v43, v64
	v_pk_add_f16 v43, v65, v92 neg_lo:[0,1] neg_hi:[0,1]
	v_add_f16_e32 v1, v53, v1
	v_perm_b32 v30, v30, v82, 0x5040100
	v_pack_b32_f16 v74, v74, v74
	v_pk_mul_f16 v105, 0xbbf73a62, v68 op_sel_hi:[1,0]
	v_pk_add_f16 v29, v29, v43
	v_add_f16_e32 v108, v54, v1
	v_pk_add_f16 v1, v42, v70
	v_pk_add_f16 v42, v69, v55 neg_lo:[0,1] neg_hi:[0,1]
	v_perm_b32 v55, v88, v63, 0x5040100
	v_perm_b32 v43, v97, v61, 0x5040100
	;; [unrolled: 1-line block ×3, first 2 shown]
	v_mul_f16_e32 v84, 0xbb29, v32
	v_pk_add_f16 v1, v1, v42
	v_pk_add_f16 v0, v55, v0 neg_lo:[0,1] neg_hi:[0,1]
	v_perm_b32 v55, v93, v62, 0x5040100
	v_pk_add_f16 v42, v66, v57 neg_lo:[0,1] neg_hi:[0,1]
	v_pack_b32_f16 v101, v32, v32
	v_mul_f16_e32 v32, 0xb836, v32
	v_pk_add_f16 v0, v91, v0
	v_pk_add_f16 v30, v55, v30 neg_lo:[0,1] neg_hi:[0,1]
	v_pack_b32_f16 v73, v73, v73
	v_pk_mul_f16 v96, 0xb8363964, v78 op_sel_hi:[1,0]
	v_pk_mul_f16 v74, 0xbbddbacd, v74
	v_pk_add_f16 v1, v1, v42
	v_pk_add_f16 v42, v67, v105 neg_lo:[0,1] neg_hi:[0,1]
	v_pk_add_f16 v0, v0, v30
	v_pk_add_f16 v30, v43, v31 neg_lo:[0,1] neg_hi:[0,1]
	v_mul_f16_e32 v85, 0xb1e1, v33
	v_pack_b32_f16 v104, v33, v33
	v_mul_f16_e32 v33, 0x3bf7, v33
	v_perm_b32 v31, v100, v59, 0x5040100
	v_perm_b32 v32, v32, v84, 0x5040100
	v_pack_b32_f16 v77, v77, v77
	v_pk_mul_f16 v73, 0x3b763722, v73
	v_pk_add_f16 v1, v1, v42
	v_pk_add_f16 v42, v71, v96 neg_lo:[0,1] neg_hi:[0,1]
	v_pk_add_f16 v0, v0, v30
	v_pk_fma_f16 v30, 0xb1e1b836, v89, v74
	v_pk_add_f16 v31, v31, v32 neg_lo:[0,1] neg_hi:[0,1]
	v_perm_b32 v32, v76, v39, 0x5040100
	v_perm_b32 v33, v33, v85, 0x5040100
	v_pk_fma_f16 v39, 0xb1e1b836, v89, v74 neg_lo:[0,1,0] neg_hi:[0,1,0]
	v_pack_b32_f16 v75, v75, v75
	v_pk_mul_f16 v77, 0xbacd2de8, v77
	v_pk_add_f16 v1, v1, v42
	v_pk_add_f16 v30, v91, v30
	v_pk_fma_f16 v42, 0x35c83b29, v94, v73
	v_pk_add_f16 v0, v0, v31
	v_pk_add_f16 v31, v32, v33 neg_lo:[0,1] neg_hi:[0,1]
	v_pk_add_f16 v32, v91, v39
	v_pk_fma_f16 v33, 0x35c83b29, v94, v73 neg_lo:[0,1,0] neg_hi:[0,1,0]
	v_mul_f16_e32 v86, 0x3bf7, v40
	v_pack_b32_f16 v107, v40, v40
	v_pk_mul_f16 v75, 0x39e9b8d2, v75
	v_mul_f16_e32 v40, 0xb964, v40
	v_pk_add_f16 v30, v30, v42
	v_pk_fma_f16 v39, 0xb836bbf7, v98, v77
	v_pk_add_f16 v32, v32, v33
	v_pk_fma_f16 v33, 0xb836bbf7, v98, v77 neg_lo:[0,1,0] neg_hi:[0,1,0]
	v_pk_mul_f16 v103, 0xb8d23b76, v103
	v_perm_b32 v37, v80, v37, 0x5040100
	v_perm_b32 v40, v40, v86, 0x5040100
	v_pk_add_f16 v30, v30, v39
	v_pk_fma_f16 v39, 0x39643a62, v101, v75
	v_mul_f16_e32 v99, 0x3722, v81
	v_pk_add_f16 v32, v32, v33
	v_pk_fma_f16 v33, 0x39643a62, v101, v75 neg_lo:[0,1,0] neg_hi:[0,1,0]
	v_mul_f16_e32 v87, 0xb5c8, v68
	v_pack_b32_f16 v79, v79, v79
	v_pack_b32_f16 v60, v68, v68
	v_pk_mul_f16 v106, 0x3722bbdd, v106
	v_mul_f16_e32 v68, 0xb1e1, v68
	v_pk_add_f16 v0, v0, v31
	v_pk_add_f16 v31, v37, v40 neg_lo:[0,1] neg_hi:[0,1]
	v_pk_add_f16 v30, v30, v39
	v_pk_fma_f16 v37, 0xba62b5c8, v104, v103
	v_fmamk_f16 v58, v78, 0x3b29, v99
	v_pk_add_f16 v32, v32, v33
	v_pk_fma_f16 v33, 0xba62b5c8, v104, v103 neg_lo:[0,1,0] neg_hi:[0,1,0]
	v_pack_b32_f16 v81, v81, v81
	v_pk_mul_f16 v79, 0xb46139e9, v79
	v_perm_b32 v35, v95, v35, 0x5040100
	v_perm_b32 v39, v68, v87, 0x5040100
	v_pk_add_f16 v30, v30, v37
	v_pk_fma_f16 v37, 0x3b29b1e1, v107, v106
	v_add_f16_e32 v58, v90, v58
	v_pack_b32_f16 v90, v78, v78
	v_pk_mul_f16 v56, 0xb1e135c8, v78 op_sel_hi:[1,0]
	v_mul_f16_e32 v45, 0xba62, v78
	v_mul_f16_e32 v78, 0x3b29, v78
	v_pk_add_f16 v32, v32, v33
	v_pk_fma_f16 v33, 0x3b29b1e1, v107, v106 neg_lo:[0,1,0] neg_hi:[0,1,0]
	v_pk_mul_f16 v81, 0x2de8b461, v81
	v_pk_add_f16 v0, v0, v31
	v_pk_add_f16 v31, v35, v39 neg_lo:[0,1] neg_hi:[0,1]
	v_pk_add_f16 v30, v30, v37
	v_pk_fma_f16 v35, 0xbbb23964, v60, v79
	v_pk_add_f16 v55, v72, v56 neg_lo:[0,1] neg_hi:[0,1]
	v_perm_b32 v34, v99, v34, 0x5040100
	v_perm_b32 v37, v78, v45, 0x5040100
	v_pk_add_f16 v32, v32, v33
	v_pk_fma_f16 v33, 0xbbb23964, v60, v79 neg_lo:[0,1,0] neg_hi:[0,1,0]
	v_pk_add_f16 v30, v30, v35
	v_pk_fma_f16 v35, 0x3bf7bbb2, v90, v81
	v_mul_u32_u24_e32 v102, 34, v11
	v_pk_add_f16 v29, v29, v55
	v_pk_add_f16 v0, v0, v31
	v_pk_add_f16 v31, v34, v37 neg_lo:[0,1] neg_hi:[0,1]
	v_pk_add_f16 v32, v32, v33
	v_pk_fma_f16 v33, 0x3bf7bbb2, v90, v81 neg_lo:[0,1,0] neg_hi:[0,1,0]
	v_pk_add_f16 v34, v30, v35
	v_add3_u32 v102, 0, v102, v12
	v_alignbit_b32 v29, v29, v29, 16
	v_alignbit_b32 v30, v1, v1, 16
	v_pk_add_f16 v31, v0, v31
	v_pk_add_f16 v32, v32, v33
	v_alignbit_b32 v0, v34, v34, 16
	v_perm_b32 v1, v13, v58, 0x5040100
	ds_write_b16 v102, v108
	ds_write_b128 v102, v[29:32] offset:2
	ds_write_b128 v102, v[0:3] offset:18
.LBB0_15:
	s_or_b32 exec_lo, exec_lo, s0
	v_lshlrev_b32_e32 v0, 1, v11
	s_waitcnt lgkmcnt(0)
	s_barrier
	buffer_gl0_inv
	v_cmp_gt_u32_e64 s0, 17, v11
	v_add_nc_u32_e32 v55, 0, v0
	v_add3_u32 v0, 0, v12, v0
                                        ; implicit-def: $vgpr39
	v_add_nc_u32_e32 v1, v55, v12
	ds_read_u16 v29, v0
	ds_read_u16 v37, v1 offset:1768
	ds_read_u16 v31, v1 offset:1530
	;; [unrolled: 1-line block ×11, first 2 shown]
	s_and_saveexec_b32 s4, s0
	s_cbranch_execz .LBB0_17
; %bb.16:
	ds_read_u16 v2, v1 offset:850
	ds_read_u16 v3, v1 offset:1734
	;; [unrolled: 1-line block ×4, first 2 shown]
	s_waitcnt lgkmcnt(3)
	ds_read_u16_d16_hi v2, v1 offset:1292
	s_waitcnt lgkmcnt(3)
	ds_read_u16_d16_hi v3, v1 offset:2176
.LBB0_17:
	s_or_b32 exec_lo, exec_lo, s4
	v_sub_f16_e32 v104, v50, v54
	v_add_f16_e32 v85, v28, v4
	v_sub_f16_e32 v100, v49, v53
	v_add_f16_e32 v81, v27, v14
	v_sub_f16_e32 v91, v47, v52
	v_pk_mul_f16 v98, 0xb5c8b964, v104 op_sel_hi:[1,0]
	v_sub_f16_e32 v95, v41, v51
	v_pk_mul_f16 v99, 0xb964bbf7, v100 op_sel_hi:[1,0]
	v_add_f16_e32 v82, v26, v16
	v_sub_f16_e32 v96, v38, v48
	v_pk_fma_f16 v41, 0x3b7639e9, v85, v98 op_sel_hi:[1,0,1] neg_lo:[0,0,1] neg_hi:[0,0,1]
	v_pk_mul_f16 v101, 0xbb29ba62, v91 op_sel_hi:[1,0]
	v_add_f16_e32 v78, v25, v17
	v_sub_f16_e32 v93, v36, v46
	v_pk_mul_f16 v102, 0xbbf7b1e1, v95 op_sel_hi:[1,0]
	v_pk_add_f16 v38, v15, v41 op_sel:[1,0]
	v_pk_fma_f16 v41, 0x39e92de8, v81, v99 op_sel_hi:[1,0,1] neg_lo:[0,0,1] neg_hi:[0,0,1]
	v_add_f16_e32 v92, v24, v18
	v_pk_mul_f16 v103, 0xbbb23836, v96 op_sel_hi:[1,0]
	v_pk_mul_f16 v86, 0xbb29bbf7, v104 op_sel_hi:[1,0]
	v_add_f16_e32 v89, v23, v19
	v_pk_add_f16 v36, v38, v41
	v_pk_fma_f16 v38, 0x3722b8d2, v82, v101 op_sel_hi:[1,0,1] neg_lo:[0,0,1] neg_hi:[0,0,1]
	v_sub_f16_e32 v94, v6, v44
	v_pk_mul_f16 v105, 0xba623bb2, v93 op_sel_hi:[1,0]
	v_pk_mul_f16 v84, 0xba62b1e1, v100 op_sel_hi:[1,0]
	v_add_f16_e32 v46, v22, v20
	v_pk_add_f16 v36, v36, v38
	v_pk_fma_f16 v38, 0x2de8bbdd, v78, v102 op_sel_hi:[1,0,1] neg_lo:[0,0,1] neg_hi:[0,0,1]
	v_pk_mul_f16 v106, 0xb8363b29, v94 op_sel_hi:[1,0]
	v_pk_fma_f16 v60, 0xb8d2bbdd, v81, v84 op_sel_hi:[1,0,1] neg_lo:[0,0,1] neg_hi:[0,0,1]
	v_pk_mul_f16 v83, 0x31e13bb2, v91 op_sel_hi:[1,0]
	v_pk_mul_f16 v80, 0x3bb235c8, v95 op_sel_hi:[1,0]
	v_pk_add_f16 v6, v36, v38
	v_pk_fma_f16 v36, 0xb461bacd, v92, v103 op_sel_hi:[1,0,1] neg_lo:[0,0,1] neg_hi:[0,0,1]
	v_pk_fma_f16 v38, 0x37222de8, v85, v86 op_sel_hi:[1,0,1] neg_lo:[0,0,1] neg_hi:[0,0,1]
	;; [unrolled: 1-line block ×4, first 2 shown]
	v_mul_f16_e32 v53, 0xb461, v85
	v_pk_add_f16 v6, v6, v36
	v_pk_fma_f16 v36, 0xb8d2b461, v89, v105 op_sel_hi:[1,0,1] neg_lo:[0,0,1] neg_hi:[0,0,1]
	v_pk_add_f16 v38, v15, v38 op_sel:[1,0]
	v_mul_f16_e32 v54, 0xbbb2, v104
	v_pk_mul_f16 v79, 0x3964bb29, v96 op_sel_hi:[1,0]
	v_mul_f16_e32 v49, 0xbacd, v81
	v_pk_add_f16 v6, v6, v36
	v_pk_add_f16 v60, v38, v60
	v_sub_f16_e32 v38, v5, v7
	v_pk_fma_f16 v7, 0xb4613b76, v78, v80 op_sel_hi:[1,0,1] neg_lo:[0,0,1] neg_hi:[0,0,1]
	v_mul_f16_e32 v50, 0x3836, v100
	v_pk_add_f16 v5, v6, v61
	v_pk_add_f16 v6, v60, v62
	v_pk_mul_f16 v60, 0xbacdb8d2, v85 op_sel_hi:[1,0]
	v_pk_mul_f16 v61, 0xb836ba62, v104 op_sel_hi:[1,0]
	;; [unrolled: 1-line block ×4, first 2 shown]
	v_pk_add_f16 v6, v6, v7
	v_pk_fma_f16 v7, 0x39e93722, v92, v79 op_sel_hi:[1,0,1] neg_lo:[0,0,1] neg_hi:[0,0,1]
	v_pack_b32_f16 v62, v60, v53
	v_pack_b32_f16 v63, v61, v54
	v_pk_mul_f16 v65, 0x3b293bb2, v100 op_sel_hi:[1,0]
	v_mul_f16_e32 v57, 0x39e9, v82
	v_mul_f16_e32 v58, 0x3964, v91
	v_pk_add_f16 v6, v6, v7
	v_pk_fma_f16 v7, 0x3b76bacd, v89, v90 op_sel_hi:[1,0,1] neg_lo:[0,0,1] neg_hi:[0,0,1]
	v_pk_add_f16 v62, v62, v63 neg_lo:[0,1] neg_hi:[0,1]
	v_pack_b32_f16 v63, v64, v49
	v_pack_b32_f16 v68, v65, v50
	v_pk_mul_f16 v66, 0x2de83b76, v82 op_sel_hi:[1,0]
	v_pk_mul_f16 v67, 0xbbf7b5c8, v91 op_sel_hi:[1,0]
	v_mul_f16_e32 v47, 0x3722, v78
	v_mul_f16_e32 v51, 0xbb29, v95
	v_pk_add_f16 v6, v6, v7
	v_pk_add_f16 v7, v15, v62 op_sel:[1,0]
	v_pk_add_f16 v62, v63, v68 neg_lo:[0,1] neg_hi:[0,1]
	v_pack_b32_f16 v63, v66, v57
	v_pack_b32_f16 v70, v67, v58
	v_pk_mul_f16 v68, 0xb8d2bacd, v78 op_sel_hi:[1,0]
	v_pk_mul_f16 v69, 0x3a62b836, v95 op_sel_hi:[1,0]
	v_mul_f16_e32 v48, 0xbbdd, v92
	v_mul_f16_e32 v59, 0xb1e1, v96
	v_pk_add_f16 v7, v7, v62
	v_pk_add_f16 v62, v63, v70 neg_lo:[0,1] neg_hi:[0,1]
	v_pack_b32_f16 v63, v68, v47
	v_pack_b32_f16 v72, v69, v51
	v_pk_mul_f16 v70, 0x3b762de8, v92 op_sel_hi:[1,0]
	v_pk_mul_f16 v71, 0xb5c83bf7, v96 op_sel_hi:[1,0]
	v_mul_f16_e32 v52, 0x2de8, v89
	v_mul_f16_e32 v56, 0x3bf7, v93
	v_pk_add_f16 v7, v7, v62
	v_pk_add_f16 v62, v63, v72 neg_lo:[0,1] neg_hi:[0,1]
	v_pack_b32_f16 v63, v70, v48
	v_pack_b32_f16 v74, v71, v59
	v_pk_mul_f16 v72, 0xbbdd39e9, v89 op_sel_hi:[1,0]
	v_pk_mul_f16 v73, 0xb1e1b964, v93 op_sel_hi:[1,0]
	v_mul_f16_e32 v41, 0x3b76, v46
	v_mul_f16_e32 v44, 0xb5c8, v94
	v_add_f16_e32 v36, v21, v15
	v_pk_add_f16 v7, v7, v62
	v_pk_add_f16 v62, v63, v74 neg_lo:[0,1] neg_hi:[0,1]
	v_pack_b32_f16 v63, v72, v52
	v_pack_b32_f16 v88, v73, v56
	v_pk_mul_f16 v74, 0x39e9bbdd, v46 op_sel_hi:[1,0]
	v_pk_mul_f16 v75, 0x3964b1e1, v94 op_sel_hi:[1,0]
	;; [unrolled: 1-line block ×3, first 2 shown]
	v_mul_f16_e32 v76, 0xb8d2, v36
	v_mul_f16_e32 v77, 0xba62, v38
	v_pk_add_f16 v7, v7, v62
	v_pk_add_f16 v108, v63, v88 neg_lo:[0,1] neg_hi:[0,1]
	v_pack_b32_f16 v109, v74, v41
	v_pack_b32_f16 v110, v75, v44
	v_pk_mul_f16 v62, 0xb4613722, v36 op_sel_hi:[1,0]
	v_pk_mul_f16 v63, 0xbbb23b29, v38 op_sel_hi:[1,0]
	;; [unrolled: 1-line block ×3, first 2 shown]
	v_pk_fma_f16 v107, 0x2de8b8d2, v46, v87 op_sel_hi:[1,0,1] neg_lo:[0,0,1] neg_hi:[0,0,1]
	v_pk_mul_f16 v88, 0xb8363964, v38 op_sel_hi:[1,0]
	v_pk_add_f16 v7, v7, v108
	v_pk_add_f16 v108, v109, v110 neg_lo:[0,1] neg_hi:[0,1]
	v_pack_b32_f16 v109, v62, v76
	v_pack_b32_f16 v110, v63, v77
	v_pk_fma_f16 v111, 0xbbdd3b76, v36, v97 op_sel_hi:[1,0,1] neg_lo:[0,0,1] neg_hi:[0,0,1]
	v_pk_add_f16 v6, v6, v107
	v_pk_fma_f16 v107, 0xbacd39e9, v36, v88 op_sel_hi:[1,0,1] neg_lo:[0,0,1] neg_hi:[0,0,1]
	v_pk_add_f16 v108, v7, v108
	v_pk_add_f16 v109, v109, v110 neg_lo:[0,1] neg_hi:[0,1]
	v_pk_add_f16 v7, v5, v111
	s_waitcnt lgkmcnt(0)
	v_pk_add_f16 v6, v6, v107
	s_barrier
	v_pk_add_f16 v5, v108, v109
	buffer_gl0_inv
	s_and_saveexec_b32 s4, s1
	s_cbranch_execz .LBB0_19
; %bb.18:
	v_add_f16_sdwa v28, v15, v28 dst_sel:DWORD dst_unused:UNUSED_PAD src0_sel:WORD_1 src1_sel:DWORD
	v_pk_mul_f16 v108, 0x3b7639e9, v85 op_sel_hi:[1,0]
	v_pack_b32_f16 v109, v104, v104
	v_pk_mul_f16 v112, 0x39e92de8, v81 op_sel_hi:[1,0]
	v_mul_f16_e32 v104, 0xb1e1, v104
	v_add_f16_e32 v27, v28, v27
	v_bfi_b32 v21, 0xffff, v21, v98
	v_pack_b32_f16 v113, v100, v100
	v_pk_mul_f16 v115, 0x3722b8d2, v82 op_sel_hi:[1,0]
	v_fmamk_f16 v134, v85, 0xbbdd, v104
	v_add_f16_e32 v26, v27, v26
	v_mul_f16_e32 v100, 0x35c8, v100
	v_perm_b32 v110, v15, v15, 0x7060302
	v_pack_b32_f16 v116, v91, v91
	v_pk_mul_f16 v118, 0x2de8bbdd, v78 op_sel_hi:[1,0]
	v_add_f16_e32 v25, v26, v25
	v_add_f16_sdwa v98, v15, v134 dst_sel:DWORD dst_unused:UNUSED_PAD src0_sel:WORD_1 src1_sel:DWORD
	v_mul_f16_e32 v91, 0xb836, v91
	v_pack_b32_f16 v28, v95, v95
	v_pk_mul_f16 v120, 0xb461bacd, v92 op_sel_hi:[1,0]
	v_add_f16_e32 v24, v25, v24
	v_mul_f16_e32 v95, 0x3964, v95
	v_pack_b32_f16 v114, v82, v82
	v_pack_b32_f16 v117, v78, v78
	;; [unrolled: 1-line block ×3, first 2 shown]
	v_add_f16_e32 v23, v24, v23
	v_pk_mul_f16 v122, 0xb8d2b461, v89 op_sel_hi:[1,0]
	v_pk_mul_f16 v130, 0xbbddb461, v82 op_sel_hi:[1,0]
	;; [unrolled: 1-line block ×3, first 2 shown]
	v_mul_f16_e32 v96, 0xba62, v96
	v_add_f16_e32 v22, v23, v22
	v_pk_mul_f16 v26, 0xbacd3722, v46 op_sel_hi:[1,0]
	v_pack_b32_f16 v107, v85, v85
	v_pack_b32_f16 v111, v81, v81
	v_pk_mul_f16 v128, 0x37222de8, v85 op_sel_hi:[1,0]
	v_bfi_b32 v22, 0xffff, v22, v108
	v_fmamk_f16 v108, v81, 0x3b76, v100
	v_pk_mul_f16 v129, 0xb8d2bbdd, v81 op_sel_hi:[1,0]
	v_pack_b32_f16 v119, v92, v92
	v_pack_b32_f16 v123, v93, v93
	v_pk_add_f16 v21, v22, v21
	v_pk_add_f16 v22, v112, v99
	v_add_f16_e32 v98, v98, v108
	v_fmamk_f16 v99, v82, 0xbacd, v91
	v_pack_b32_f16 v27, v89, v89
	v_pk_add_f16 v15, v21, v15
	v_bfi_b32 v20, 0xffff, v20, v22
	v_pk_add_f16 v21, v115, v101
	v_mul_f16_e32 v22, 0xbacd, v82
	v_add_f16_e32 v82, v98, v99
	v_pack_b32_f16 v125, v94, v94
	v_pk_add_f16 v15, v20, v15
	v_bfi_b32 v19, 0xffff, v19, v21
	v_pk_add_f16 v20, v118, v102
	v_mul_f16_e32 v21, 0x39e9, v78
	v_fmamk_f16 v78, v78, 0x39e9, v95
	v_pk_mul_f16 v131, 0x39e93722, v92 op_sel_hi:[1,0]
	v_pk_add_f16 v15, v19, v15
	v_bfi_b32 v18, 0xffff, v18, v20
	v_pk_add_f16 v19, v120, v103
	v_add_f16_e32 v20, v82, v78
	v_fmamk_f16 v78, v92, 0xb8d2, v96
	v_perm_b32 v24, v47, v24, 0x5040100
	v_pk_add_f16 v15, v18, v15
	v_bfi_b32 v17, 0xffff, v17, v19
	v_pk_add_f16 v18, v122, v105
	v_add_f16_e32 v19, v20, v78
	v_mul_f16_e32 v78, 0x3b29, v93
	v_perm_b32 v47, v51, v80, 0x5040100
	v_pk_add_f16 v15, v17, v15
	v_bfi_b32 v16, 0xffff, v16, v18
	v_pk_add_f16 v17, v26, v106
	v_pk_mul_f16 v18, 0xbb29b964, v109
	v_fmamk_f16 v26, v89, 0x3722, v78
	v_pack_b32_f16 v124, v46, v46
	v_pk_add_f16 v15, v16, v15
	v_bfi_b32 v14, 0xffff, v14, v17
	v_pk_fma_f16 v16, 0x372239e9, v107, v18
	v_pk_mul_f16 v17, 0xba62bbf7, v113
	v_add_f16_e32 v18, v19, v26
	v_perm_b32 v26, v53, v128, 0x5040100
	v_pk_add_f16 v14, v14, v15
	v_pk_add_f16 v15, v110, v16
	v_pk_fma_f16 v16, 0xb8d22de8, v111, v17
	v_pk_mul_f16 v17, 0x31e1ba62, v116
	v_perm_b32 v53, v54, v86, 0x5040100
	v_pk_mul_f16 v127, 0xbbdd3b76, v36 op_sel_hi:[1,0]
	v_pack_b32_f16 v25, v38, v38
	v_pk_add_f16 v15, v15, v16
	v_pk_fma_f16 v16, 0xbbddb8d2, v114, v17
	v_pk_mul_f16 v17, 0x3bb2b1e1, v28
	v_pk_add_f16 v26, v26, v53
	v_perm_b32 v28, v49, v129, 0x5040100
	v_perm_b32 v49, v50, v84, 0x5040100
	v_pk_add_f16 v15, v15, v16
	v_pk_fma_f16 v16, 0xb461bbdd, v117, v17
	v_pk_mul_f16 v17, 0x39643836, v121
	v_pk_add_f16 v26, v110, v26
	v_pk_add_f16 v28, v28, v49
	v_perm_b32 v49, v57, v130, 0x5040100
	v_perm_b32 v50, v58, v83, 0x5040100
	v_pk_add_f16 v15, v15, v16
	v_pk_fma_f16 v16, 0x39e9bacd, v119, v17
	v_pk_mul_f16 v17, 0xb5c83bb2, v123
	v_pk_add_f16 v26, v26, v28
	v_pk_add_f16 v28, v49, v50
	v_pk_mul_f16 v132, 0x3b76bacd, v89 op_sel_hi:[1,0]
	v_pk_add_f16 v15, v15, v16
	v_pk_fma_f16 v16, 0x3b76b461, v27, v17
	v_pk_mul_f16 v17, 0xbbf73b29, v125
	v_pk_add_f16 v26, v26, v28
	v_pk_add_f16 v24, v24, v47
	v_perm_b32 v27, v48, v131, 0x5040100
	v_perm_b32 v28, v59, v79, 0x5040100
	v_pack_b32_f16 v126, v36, v36
	v_mul_f16_e32 v20, 0x3722, v89
	v_mul_f16_e32 v89, 0xbbb2, v94
	v_pk_add_f16 v54, v127, v97
	v_pk_add_f16 v15, v15, v16
	v_pk_fma_f16 v16, 0x2de83722, v124, v17
	v_pk_mul_f16 v17, 0xb83635c8, v25
	v_pk_add_f16 v24, v26, v24
	v_pk_add_f16 v25, v27, v28
	v_perm_b32 v26, v52, v132, 0x5040100
	v_perm_b32 v27, v56, v90, 0x5040100
	v_mul_f16_e32 v85, 0xbbdd, v85
	v_fmamk_f16 v19, v46, 0xb461, v89
	v_bfi_b32 v4, 0xffff, v4, v54
	v_pk_add_f16 v15, v15, v16
	v_pk_fma_f16 v16, 0xbacd3b76, v126, v17
	v_pk_add_f16 v17, v24, v25
	v_pk_add_f16 v24, v26, v27
	v_pk_mul_f16 v23, 0x2de8b8d2, v46 op_sel_hi:[1,0]
	v_mul_f16_e32 v81, 0x3b76, v81
	v_add_f16_e32 v18, v18, v19
	v_pk_add_f16 v14, v4, v14
	v_pk_add_f16 v15, v15, v16
	;; [unrolled: 1-line block ×4, first 2 shown]
	v_bfi_b32 v17, 0xffff, v85, v60
	v_bfi_b32 v19, 0xffff, v104, v61
	v_perm_b32 v23, v41, v23, 0x5040100
	v_perm_b32 v24, v44, v87, 0x5040100
	v_pk_add_f16 v16, v110, v16
	v_pk_add_f16 v26, v64, v65
	v_pk_add_f16 v17, v17, v19 neg_lo:[0,1] neg_hi:[0,1]
	v_bfi_b32 v19, 0xffff, v81, v64
	v_bfi_b32 v27, 0xffff, v100, v65
	v_pk_add_f16 v23, v23, v24
	v_pk_add_f16 v16, v16, v26
	;; [unrolled: 1-line block ×4, first 2 shown]
	v_pk_add_f16 v19, v19, v27 neg_lo:[0,1] neg_hi:[0,1]
	v_bfi_b32 v22, 0xffff, v22, v66
	v_bfi_b32 v26, 0xffff, v91, v67
	v_mul_f16_e32 v82, 0xb8d2, v92
	v_pk_add_f16 v4, v4, v23
	v_pk_add_f16 v16, v16, v24
	;; [unrolled: 1-line block ×4, first 2 shown]
	v_pk_add_f16 v19, v22, v26 neg_lo:[0,1] neg_hi:[0,1]
	v_bfi_b32 v21, 0xffff, v21, v68
	v_bfi_b32 v22, 0xffff, v95, v69
	v_pk_mul_f16 v133, 0xbacd39e9, v36 op_sel_hi:[1,0]
	v_pk_add_f16 v16, v16, v23
	v_pk_add_f16 v23, v70, v71
	;; [unrolled: 1-line block ×3, first 2 shown]
	v_pk_add_f16 v19, v21, v22 neg_lo:[0,1] neg_hi:[0,1]
	v_bfi_b32 v21, 0xffff, v82, v70
	v_bfi_b32 v22, 0xffff, v96, v71
	v_mul_f16_e32 v25, 0xb461, v46
	v_perm_b32 v24, v76, v133, 0x5040100
	v_perm_b32 v26, v77, v88, 0x5040100
	v_pk_add_f16 v16, v16, v23
	v_pk_add_f16 v23, v72, v73
	;; [unrolled: 1-line block ×3, first 2 shown]
	v_pk_add_f16 v19, v21, v22 neg_lo:[0,1] neg_hi:[0,1]
	v_bfi_b32 v20, 0xffff, v20, v72
	v_bfi_b32 v21, 0xffff, v78, v73
	v_pk_add_f16 v22, v24, v26
	v_pk_add_f16 v16, v16, v23
	;; [unrolled: 1-line block ×4, first 2 shown]
	v_pk_add_f16 v19, v20, v21 neg_lo:[0,1] neg_hi:[0,1]
	v_bfi_b32 v20, 0xffff, v25, v74
	v_bfi_b32 v21, 0xffff, v89, v75
	v_mul_f16_e32 v24, 0x2de8, v36
	v_mul_f16_e32 v25, 0x3bf7, v38
	v_pk_add_f16 v23, v16, v23
	v_pk_add_f16 v16, v17, v19
	v_pk_add_f16 v17, v20, v21 neg_lo:[0,1] neg_hi:[0,1]
	v_bfi_b32 v19, 0xffff, v24, v62
	v_bfi_b32 v20, 0xffff, v25, v63
	v_pk_add_f16 v21, v62, v63
	v_fmamk_f16 v24, v36, 0x2de8, v25
	v_lshlrev_b32_e32 v25, 5, v11
	v_pk_add_f16 v26, v16, v17
	v_pk_add_f16 v19, v19, v20 neg_lo:[0,1] neg_hi:[0,1]
	v_pk_add_f16 v16, v4, v22
	v_pk_add_f16 v17, v23, v21
	v_add3_u32 v20, v55, v25, v12
	v_add_f16_e32 v18, v18, v24
	v_pk_add_f16 v4, v26, v19
	ds_write_b128 v20, v[14:17]
	ds_write_b16 v20, v18 offset:16
	ds_write_b128 v20, v[4:7] offset:18
.LBB0_19:
	s_or_b32 exec_lo, exec_lo, s4
	s_waitcnt lgkmcnt(0)
	s_barrier
	buffer_gl0_inv
	ds_read_u16 v15, v0
	ds_read_u16 v21, v1 offset:1768
	ds_read_u16 v16, v1 offset:1530
	;; [unrolled: 1-line block ×11, first 2 shown]
	v_lshrrev_b32_e32 v4, 16, v5
                                        ; implicit-def: $vgpr22
	s_and_saveexec_b32 s1, s0
	s_cbranch_execz .LBB0_21
; %bb.20:
	ds_read_u16 v6, v1 offset:850
	ds_read_u16 v7, v1 offset:1734
	;; [unrolled: 1-line block ×4, first 2 shown]
	s_waitcnt lgkmcnt(3)
	ds_read_u16_d16_hi v6, v1 offset:1292
	s_waitcnt lgkmcnt(3)
	ds_read_u16_d16_hi v7, v1 offset:2176
.LBB0_21:
	s_or_b32 exec_lo, exec_lo, s1
	v_and_b32_e32 v5, 0xff, v11
	v_add_nc_u32_e32 v23, 0xcc, v11
	v_mov_b32_e32 v24, 0xf0f1
	v_mov_b32_e32 v38, 5
	v_add_nc_u16 v41, v11, 0x66
	v_mul_lo_u16 v5, 0xf1, v5
	v_mov_b32_e32 v50, 1
	v_lshrrev_b32_e32 v68, 16, v2
	s_waitcnt lgkmcnt(1)
	v_lshrrev_b32_e32 v69, 16, v6
	v_and_b32_e32 v46, 0xff, v41
	v_lshrrev_b16 v36, 12, v5
	v_mul_u32_u24_sdwa v5, v23, v24 dst_sel:DWORD dst_unused:UNUSED_PAD src0_sel:WORD_0 src1_sel:DWORD
	v_lshrrev_b32_e32 v70, 16, v3
	s_waitcnt lgkmcnt(0)
	v_lshrrev_b32_e32 v71, 16, v7
	v_mul_lo_u16 v24, v36, 17
	v_lshrrev_b32_e32 v5, 20, v5
	v_and_b32_e32 v36, 0xffff, v36
	v_sub_nc_u16 v24, v11, v24
	v_mul_lo_u16 v5, v5, 17
	v_mad_u32_u24 v36, 0xcc, v36, 0
	v_mul_u32_u24_sdwa v44, v24, v38 dst_sel:DWORD dst_unused:UNUSED_PAD src0_sel:BYTE_0 src1_sel:DWORD
	v_sub_nc_u16 v5, v23, v5
	v_lshlrev_b32_sdwa v24, v50, v24 dst_sel:DWORD dst_unused:UNUSED_PAD src0_sel:DWORD src1_sel:BYTE_0
	v_lshlrev_b32_e32 v23, 2, v44
	v_mul_lo_u16 v44, 0xf1, v46
	v_mul_u32_u24_sdwa v46, v5, v38 dst_sel:DWORD dst_unused:UNUSED_PAD src0_sel:WORD_0 src1_sel:DWORD
	s_clause 0x1
	global_load_dwordx4 v[53:56], v23, s[8:9]
	global_load_dword v65, v23, s[8:9] offset:16
	v_lshrrev_b16 v44, 12, v44
	v_lshlrev_b32_e32 v46, 2, v46
	v_mul_lo_u16 v23, v44, 17
	s_clause 0x1
	global_load_dwordx4 v[57:60], v46, s[8:9]
	global_load_dword v66, v46, s[8:9] offset:16
	v_sub_nc_u16 v23, v41, v23
	v_mul_u32_u24_sdwa v38, v23, v38 dst_sel:DWORD dst_unused:UNUSED_PAD src0_sel:BYTE_0 src1_sel:DWORD
	v_lshlrev_b32_sdwa v23, v50, v23 dst_sel:DWORD dst_unused:UNUSED_PAD src0_sel:DWORD src1_sel:BYTE_0
	v_lshlrev_b32_e32 v38, 2, v38
	s_clause 0x1
	global_load_dwordx4 v[61:64], v38, s[8:9]
	global_load_dword v67, v38, s[8:9] offset:16
	v_and_b32_e32 v38, 0xffff, v44
	v_add3_u32 v44, v36, v24, v12
	s_waitcnt vmcnt(0)
	s_barrier
	buffer_gl0_inv
	v_mad_u32_u24 v38, 0xcc, v38, 0
	v_add3_u32 v38, v38, v23, v12
	v_mul_f16_sdwa v72, v28, v53 dst_sel:DWORD dst_unused:UNUSED_PAD src0_sel:DWORD src1_sel:WORD_1
	v_mul_f16_sdwa v49, v45, v53 dst_sel:DWORD dst_unused:UNUSED_PAD src0_sel:DWORD src1_sel:WORD_1
	;; [unrolled: 1-line block ×15, first 2 shown]
	v_fma_f16 v45, v45, v53, -v72
	v_fmac_f16_e32 v49, v28, v53
	v_fma_f16 v42, v42, v54, -v73
	v_fmac_f16_e32 v52, v26, v54
	;; [unrolled: 2-line block ×5, first 2 shown]
	v_mul_f16_sdwa v36, v2, v57 dst_sel:DWORD dst_unused:UNUSED_PAD src0_sel:DWORD src1_sel:WORD_1
	v_mul_f16_sdwa v55, v19, v61 dst_sel:DWORD dst_unused:UNUSED_PAD src0_sel:DWORD src1_sel:WORD_1
	;; [unrolled: 1-line block ×11, first 2 shown]
	v_fma_f16 v40, v2, v57, -v77
	v_fma_f16 v43, v3, v59, -v79
	v_fmac_f16_e32 v41, v7, v59
	v_fma_f16 v39, v39, v66, -v81
	v_fmac_f16_e32 v23, v22, v66
	;; [unrolled: 2-line block ×3, first 2 shown]
	v_fma_f16 v22, v32, v62, -v56
	v_fma_f16 v7, v31, v63, -v65
	v_fmac_f16_e32 v27, v16, v63
	v_fma_f16 v19, v33, v67, -v73
	v_fmac_f16_e32 v26, v18, v67
	v_add_f16_e32 v18, v42, v37
	v_add_f16_e32 v32, v53, v54
	;; [unrolled: 1-line block ×3, first 2 shown]
	v_mul_f16_sdwa v78, v69, v58 dst_sel:DWORD dst_unused:UNUSED_PAD src0_sel:DWORD src1_sel:WORD_1
	v_mul_f16_sdwa v46, v68, v58 dst_sel:DWORD dst_unused:UNUSED_PAD src0_sel:DWORD src1_sel:WORD_1
	;; [unrolled: 1-line block ×4, first 2 shown]
	v_fmac_f16_e32 v36, v6, v57
	v_fmac_f16_e32 v28, v17, v62
	v_fma_f16 v16, v35, v64, -v72
	v_fmac_f16_e32 v25, v20, v64
	v_add_f16_e32 v17, v29, v42
	v_sub_f16_e32 v20, v52, v47
	v_add_f16_e32 v31, v45, v53
	v_sub_f16_e32 v53, v53, v54
	v_add_f16_e32 v35, v43, v39
	v_add_f16_e32 v56, v41, v23
	v_fmac_f16_e32 v29, -0.5, v18
	v_fmac_f16_e32 v45, -0.5, v32
	v_fma_f16 v32, -0.5, v34, v49
	v_add_f16_e32 v61, v7, v19
	v_add_f16_e32 v63, v27, v26
	v_sub_f16_e32 v33, v51, v48
	v_fma_f16 v6, v68, v58, -v78
	v_fmac_f16_e32 v46, v69, v58
	v_fma_f16 v3, v70, v60, -v80
	v_fmac_f16_e32 v24, v71, v60
	v_sub_f16_e32 v55, v41, v23
	v_add_f16_e32 v58, v17, v37
	v_add_f16_e32 v18, v31, v54
	;; [unrolled: 1-line block ×5, first 2 shown]
	v_sub_f16_e32 v62, v27, v26
	v_sub_f16_e32 v64, v7, v19
	v_fma_f16 v7, -0.5, v35, v40
	v_fma_f16 v17, -0.5, v56, v36
	v_fmamk_f16 v56, v20, 0x3aee, v29
	v_fmac_f16_e32 v29, 0xbaee, v20
	v_fmamk_f16 v34, v53, 0xbaee, v32
	v_fmac_f16_e32 v2, -0.5, v61
	v_fma_f16 v20, -0.5, v63, v21
	v_sub_f16_e32 v57, v43, v39
	v_fmamk_f16 v35, v33, 0x3aee, v45
	v_fmac_f16_e32 v45, 0xbaee, v33
	v_fmac_f16_e32 v32, 0x3aee, v53
	v_add_f16_e32 v53, v58, v18
	v_add_f16_e32 v65, v31, v16
	v_fmac_f16_e32 v30, -0.5, v54
	v_add_f16_e32 v54, v60, v19
	v_fmamk_f16 v19, v55, 0x3aee, v7
	v_fmac_f16_e32 v7, 0xbaee, v55
	v_mul_f16_e32 v55, 0x3aee, v34
	v_fmamk_f16 v33, v62, 0x3aee, v2
	v_fmac_f16_e32 v2, 0xbaee, v62
	v_fmamk_f16 v31, v64, 0xbaee, v20
	v_sub_f16_e32 v58, v58, v18
	v_fmamk_f16 v18, v57, 0xbaee, v17
	v_fmac_f16_e32 v17, 0x3aee, v57
	v_mul_f16_e32 v57, -0.5, v45
	v_sub_f16_e32 v59, v28, v25
	v_fmac_f16_e32 v20, 0x3aee, v64
	ds_write_b16 v44, v53
	v_fmac_f16_e32 v55, 0.5, v35
	v_mul_f16_e32 v53, 0x3aee, v31
	v_mul_f16_e32 v61, -0.5, v2
	v_fmac_f16_e32 v57, 0x3aee, v32
	v_fmamk_f16 v60, v59, 0x3aee, v30
	v_fmac_f16_e32 v30, 0xbaee, v59
	ds_write_b16 v44, v58 offset:102
	v_add_f16_e32 v58, v56, v55
	v_fmac_f16_e32 v53, 0.5, v33
	v_fmac_f16_e32 v61, 0x3aee, v20
	v_add_f16_e32 v62, v29, v57
	v_sub_f16_e32 v55, v56, v55
	v_sub_f16_e32 v29, v29, v57
	v_add_f16_e32 v59, v65, v54
	v_sub_f16_e32 v54, v65, v54
	v_add_f16_e32 v56, v60, v53
	v_add_f16_e32 v57, v30, v61
	v_sub_f16_e32 v53, v60, v53
	v_sub_f16_e32 v30, v30, v61
	ds_write_b16 v44, v58 offset:34
	ds_write_b16 v44, v62 offset:68
	ds_write_b16 v44, v55 offset:136
	ds_write_b16 v44, v29 offset:170
	ds_write_b16 v38, v59
	ds_write_b16 v38, v54 offset:102
	ds_write_b16 v38, v56 offset:34
	ds_write_b16 v38, v57 offset:68
	ds_write_b16 v38, v53 offset:136
	ds_write_b16 v38, v30 offset:170
	s_and_saveexec_b32 s1, s0
	s_cbranch_execz .LBB0_23
; %bb.22:
	v_add_f16_e32 v29, v6, v3
	v_add_f16_e32 v54, v13, v6
	;; [unrolled: 1-line block ×3, first 2 shown]
	v_sub_f16_e32 v30, v46, v24
	v_mul_f16_e32 v53, -0.5, v7
	v_fma_f16 v13, -0.5, v29, v13
	v_mul_f16_e32 v29, 0x3aee, v18
	v_add_f16_e32 v43, v54, v3
	v_add_f16_e32 v39, v40, v39
	v_lshlrev_b32_sdwa v50, v50, v5 dst_sel:DWORD dst_unused:UNUSED_PAD src0_sel:DWORD src1_sel:WORD_0
	v_fmamk_f16 v40, v30, 0xbaee, v13
	v_fmac_f16_e32 v29, 0.5, v19
	v_fmac_f16_e32 v13, 0x3aee, v30
	v_fmac_f16_e32 v53, 0x3aee, v17
	v_add_f16_e32 v30, v43, v39
	v_add3_u32 v50, 0, v50, v12
	v_sub_f16_e32 v39, v43, v39
	v_add_f16_e32 v55, v13, v29
	v_sub_f16_e32 v54, v40, v53
	v_add_f16_e32 v40, v40, v53
	v_sub_f16_e32 v13, v13, v29
	ds_write_b16 v50, v30 offset:2448
	ds_write_b16 v50, v55 offset:2482
	;; [unrolled: 1-line block ×6, first 2 shown]
.LBB0_23:
	s_or_b32 exec_lo, exec_lo, s1
	v_add_f16_e32 v13, v52, v47
	v_add_f16_e32 v29, v15, v52
	v_sub_f16_e32 v30, v42, v37
	v_mul_f16_e32 v35, 0xbaee, v35
	v_add_f16_e32 v37, v49, v51
	v_fmac_f16_e32 v15, -0.5, v13
	v_mul_f16_e32 v13, -0.5, v32
	v_add_f16_e32 v29, v29, v47
	v_fmac_f16_e32 v35, 0.5, v34
	v_add_f16_e32 v32, v37, v48
	v_fmamk_f16 v34, v30, 0xbaee, v15
	v_fmac_f16_e32 v15, 0x3aee, v30
	v_add_f16_e32 v30, v28, v25
	v_fmac_f16_e32 v13, 0xbaee, v45
	v_add_f16_e32 v28, v14, v28
	v_sub_f16_e32 v16, v22, v16
	v_add_f16_e32 v21, v21, v27
	v_fmac_f16_e32 v14, -0.5, v30
	v_mul_f16_e32 v22, 0xbaee, v33
	v_mul_f16_e32 v20, -0.5, v20
	v_add_f16_e32 v37, v29, v32
	v_add_f16_e32 v39, v34, v35
	;; [unrolled: 1-line block ×3, first 2 shown]
	v_sub_f16_e32 v29, v29, v32
	v_sub_f16_e32 v42, v34, v35
	v_add_f16_e32 v43, v28, v25
	v_fmamk_f16 v45, v16, 0xbaee, v14
	v_add_f16_e32 v26, v21, v26
	v_fmac_f16_e32 v22, 0.5, v31
	v_sub_f16_e32 v31, v15, v13
	v_fmac_f16_e32 v14, 0x3aee, v16
	v_fmac_f16_e32 v20, 0xbaee, v2
	s_waitcnt lgkmcnt(0)
	s_barrier
	buffer_gl0_inv
	ds_read_u16 v2, v0
	ds_read_u16 v21, v1 offset:204
	ds_read_u16 v32, v1 offset:408
	;; [unrolled: 1-line block ×12, first 2 shown]
	v_add_f16_e32 v47, v43, v26
	v_add_f16_e32 v48, v45, v22
	;; [unrolled: 1-line block ×3, first 2 shown]
	v_sub_f16_e32 v26, v43, v26
	v_sub_f16_e32 v22, v45, v22
	;; [unrolled: 1-line block ×3, first 2 shown]
	s_waitcnt lgkmcnt(0)
	s_barrier
	buffer_gl0_inv
	ds_write_b16 v44, v37
	ds_write_b16 v44, v39 offset:34
	ds_write_b16 v44, v40 offset:68
	;; [unrolled: 1-line block ×5, first 2 shown]
	ds_write_b16 v38, v47
	ds_write_b16 v38, v48 offset:34
	ds_write_b16 v38, v49 offset:68
	;; [unrolled: 1-line block ×5, first 2 shown]
	s_and_saveexec_b32 s1, s0
	s_cbranch_execz .LBB0_25
; %bb.24:
	v_add_f16_e32 v14, v46, v24
	v_add_f16_e32 v20, v4, v46
	v_sub_f16_e32 v3, v6, v3
	v_add_f16_e32 v6, v36, v41
	v_mul_f16_e32 v17, -0.5, v17
	v_fmac_f16_e32 v4, -0.5, v14
	v_mul_f16_e32 v14, 0xbaee, v19
	v_mov_b32_e32 v19, 1
	v_add_f16_e32 v20, v20, v24
	v_fmac_f16_e32 v17, 0xbaee, v7
	v_fmamk_f16 v22, v3, 0xbaee, v4
	v_fmamk_f16 v3, v3, 0x3aee, v4
	v_add_f16_e32 v4, v6, v23
	v_lshlrev_b32_sdwa v5, v19, v5 dst_sel:DWORD dst_unused:UNUSED_PAD src0_sel:DWORD src1_sel:WORD_0
	v_fmac_f16_e32 v14, 0.5, v18
	v_add_f16_e32 v6, v20, v4
	v_add3_u32 v5, 0, v5, v12
	v_add_f16_e32 v7, v22, v14
	v_add_f16_e32 v12, v3, v17
	v_sub_f16_e32 v4, v20, v4
	v_sub_f16_e32 v14, v22, v14
	;; [unrolled: 1-line block ×3, first 2 shown]
	ds_write_b16 v5, v6 offset:2448
	ds_write_b16 v5, v7 offset:2482
	;; [unrolled: 1-line block ×6, first 2 shown]
.LBB0_25:
	s_or_b32 exec_lo, exec_lo, s1
	s_waitcnt lgkmcnt(0)
	s_barrier
	buffer_gl0_inv
	s_and_saveexec_b32 s0, vcc_lo
	s_cbranch_execz .LBB0_27
; %bb.26:
	v_mul_u32_u24_e32 v3, 12, v11
	v_lshlrev_b32_e32 v7, 2, v3
	s_clause 0x2
	global_load_dwordx4 v[3:6], v7, s[8:9] offset:372
	global_load_dwordx4 v[36:39], v7, s[8:9] offset:340
	;; [unrolled: 1-line block ×3, first 2 shown]
	ds_read_u16 v7, v1 offset:204
	ds_read_u16 v11, v1 offset:2448
	;; [unrolled: 1-line block ×11, first 2 shown]
	ds_read_u16 v0, v0
	ds_read_u16 v1, v1 offset:1632
	s_waitcnt vmcnt(2) lgkmcnt(11)
	v_mul_f16_sdwa v51, v11, v6 dst_sel:DWORD dst_unused:UNUSED_PAD src0_sel:DWORD src1_sel:WORD_1
	s_waitcnt vmcnt(1)
	v_mul_f16_sdwa v50, v21, v36 dst_sel:DWORD dst_unused:UNUSED_PAD src0_sel:DWORD src1_sel:WORD_1
	v_mul_f16_sdwa v23, v7, v36 dst_sel:DWORD dst_unused:UNUSED_PAD src0_sel:DWORD src1_sel:WORD_1
	;; [unrolled: 1-line block ×3, first 2 shown]
	s_waitcnt lgkmcnt(10)
	v_mul_f16_sdwa v53, v12, v37 dst_sel:DWORD dst_unused:UNUSED_PAD src0_sel:DWORD src1_sel:WORD_1
	s_waitcnt lgkmcnt(9)
	v_mul_f16_sdwa v54, v14, v5 dst_sel:DWORD dst_unused:UNUSED_PAD src0_sel:DWORD src1_sel:WORD_1
	s_waitcnt vmcnt(0) lgkmcnt(4)
	v_mul_f16_sdwa v61, v47, v40 dst_sel:DWORD dst_unused:UNUSED_PAD src0_sel:DWORD src1_sel:WORD_1
	v_mul_f16_sdwa v29, v13, v41 dst_sel:DWORD dst_unused:UNUSED_PAD src0_sel:DWORD src1_sel:WORD_1
	v_fmac_f16_e32 v50, v7, v36
	v_fma_f16 v36, v21, v36, -v23
	v_fma_f16 v21, v35, v6, -v51
	v_mul_f16_sdwa v17, v35, v6 dst_sel:DWORD dst_unused:UNUSED_PAD src0_sel:DWORD src1_sel:WORD_1
	v_mul_f16_sdwa v18, v34, v5 dst_sel:DWORD dst_unused:UNUSED_PAD src0_sel:DWORD src1_sel:WORD_1
	;; [unrolled: 1-line block ×5, first 2 shown]
	s_waitcnt lgkmcnt(2)
	v_mul_f16_sdwa v63, v49, v41 dst_sel:DWORD dst_unused:UNUSED_PAD src0_sel:DWORD src1_sel:WORD_1
	v_fmac_f16_e32 v52, v12, v37
	v_fma_f16 v32, v32, v37, -v53
	v_fma_f16 v23, v34, v5, -v54
	;; [unrolled: 1-line block ×3, first 2 shown]
	v_fmac_f16_e32 v29, v49, v41
	v_sub_f16_e32 v37, v36, v21
	v_add_f16_e32 v16, v21, v36
	v_add_f16_e32 v36, v2, v36
	s_waitcnt lgkmcnt(1)
	v_add_f16_e32 v49, v0, v50
	v_mul_f16_sdwa v57, v44, v4 dst_sel:DWORD dst_unused:UNUSED_PAD src0_sel:DWORD src1_sel:WORD_1
	v_mul_f16_sdwa v58, v25, v39 dst_sel:DWORD dst_unused:UNUSED_PAD src0_sel:DWORD src1_sel:WORD_1
	;; [unrolled: 1-line block ×4, first 2 shown]
	s_waitcnt lgkmcnt(0)
	v_mul_f16_sdwa v62, v1, v43 dst_sel:DWORD dst_unused:UNUSED_PAD src0_sel:DWORD src1_sel:WORD_1
	v_fmac_f16_e32 v17, v11, v6
	v_fmac_f16_e32 v18, v14, v5
	;; [unrolled: 1-line block ×3, first 2 shown]
	v_fma_f16 v34, v28, v38, -v56
	v_sub_f16_e32 v38, v32, v23
	v_add_f16_e32 v14, v23, v32
	v_add_f16_e32 v32, v36, v32
	;; [unrolled: 1-line block ×3, first 2 shown]
	v_mul_f16_sdwa v19, v33, v4 dst_sel:DWORD dst_unused:UNUSED_PAD src0_sel:DWORD src1_sel:WORD_1
	v_mul_f16_sdwa v64, v48, v42 dst_sel:DWORD dst_unused:UNUSED_PAD src0_sel:DWORD src1_sel:WORD_1
	v_fma_f16 v24, v33, v4, -v57
	v_fmac_f16_e32 v58, v46, v39
	v_fma_f16 v33, v25, v39, -v59
	v_fmac_f16_e32 v22, v1, v43
	v_fma_f16 v27, v27, v43, -v62
	v_sub_f16_e32 v43, v50, v17
	v_add_f16_e32 v32, v32, v34
	v_add_f16_e32 v36, v36, v55
	v_mul_f16_sdwa v20, v30, v3 dst_sel:DWORD dst_unused:UNUSED_PAD src0_sel:DWORD src1_sel:WORD_1
	v_mul_f16_sdwa v60, v45, v3 dst_sel:DWORD dst_unused:UNUSED_PAD src0_sel:DWORD src1_sel:WORD_1
	;; [unrolled: 1-line block ×3, first 2 shown]
	v_fmac_f16_e32 v19, v44, v4
	v_fmac_f16_e32 v31, v47, v40
	v_fma_f16 v28, v15, v42, -v64
	v_add_f16_e32 v15, v17, v50
	v_sub_f16_e32 v44, v52, v18
	v_mul_f16_e32 v59, 0xb94e, v43
	v_mul_f16_e32 v71, 0xb3a8, v43
	v_add_f16_e32 v32, v32, v33
	v_add_f16_e32 v36, v36, v58
	v_fmac_f16_e32 v20, v45, v3
	v_fma_f16 v25, v30, v3, -v60
	v_fmac_f16_e32 v26, v48, v42
	v_fma_f16 v30, v13, v41, -v63
	v_add_f16_e32 v7, v18, v52
	v_add_f16_e32 v5, v19, v55
	;; [unrolled: 1-line block ×3, first 2 shown]
	v_sub_f16_e32 v47, v31, v22
	v_mul_f16_e32 v50, 0xb9fd, v15
	v_mul_f16_e32 v60, 0x3bf1, v44
	;; [unrolled: 1-line block ×5, first 2 shown]
	v_fmamk_f16 v123, v16, 0xb9fd, v59
	v_fmamk_f16 v135, v16, 0xbbc4, v71
	v_add_f16_e32 v32, v32, v35
	v_add_f16_e32 v31, v36, v31
	v_sub_f16_e32 v39, v34, v24
	v_add_f16_e32 v4, v20, v58
	v_sub_f16_e32 v40, v33, v25
	;; [unrolled: 2-line block ×3, first 2 shown]
	v_sub_f16_e32 v45, v55, v19
	v_add_f16_e32 v12, v25, v33
	v_add_f16_e32 v6, v28, v30
	v_sub_f16_e32 v48, v29, v26
	v_mul_f16_e32 v51, 0x2fb7, v7
	v_mul_f16_e32 v53, 0x388b, v5
	;; [unrolled: 1-line block ×7, first 2 shown]
	v_fmamk_f16 v49, v37, 0x394e, v50
	v_fmamk_f16 v124, v14, 0x2fb7, v60
	;; [unrolled: 1-line block ×4, first 2 shown]
	v_fmac_f16_e32 v65, 0xb3a8, v37
	v_fma_f16 v71, v16, 0xbbc4, -v71
	v_fma_f16 v33, v16, 0xb5ac, -v83
	v_add_f16_e32 v123, v2, v123
	v_add_f16_e32 v135, v2, v135
	;; [unrolled: 1-line block ×4, first 2 shown]
	v_sub_f16_e32 v41, v35, v27
	v_add_f16_e32 v13, v24, v34
	v_sub_f16_e32 v46, v58, v20
	v_mul_f16_e32 v54, 0xbbc4, v4
	v_mul_f16_e32 v56, 0x3b15, v3
	;; [unrolled: 1-line block ×14, first 2 shown]
	v_fmamk_f16 v52, v38, 0xbbf1, v51
	v_fmamk_f16 v119, v39, 0x3a95, v53
	;; [unrolled: 1-line block ×4, first 2 shown]
	v_fmac_f16_e32 v50, 0xb94e, v37
	v_fmac_f16_e32 v66, 0x3770, v38
	;; [unrolled: 1-line block ×3, first 2 shown]
	v_fma_f16 v72, v14, 0x3b15, -v72
	v_fmac_f16_e32 v53, 0xba95, v39
	v_fma_f16 v39, v16, 0xb9fd, -v59
	v_add_f16_e32 v49, v0, v49
	v_fma_f16 v58, v14, 0xb9fd, -v84
	v_add_f16_e32 v129, v0, v129
	v_add_f16_e32 v123, v123, v124
	v_fmamk_f16 v124, v15, 0x2fb7, v89
	v_add_f16_e32 v65, v0, v65
	v_add_f16_e32 v135, v135, v136
	v_fma_f16 v136, v16, 0x2fb7, -v95
	v_add_f16_e32 v71, v2, v71
	v_add_f16_e32 v33, v2, v33
	;; [unrolled: 1-line block ×5, first 2 shown]
	v_mul_f16_e32 v57, 0xb5ac, v1
	v_mul_f16_e32 v62, 0x33a8, v46
	;; [unrolled: 1-line block ×17, first 2 shown]
	v_fmamk_f16 v120, v40, 0xb3a8, v54
	v_fmamk_f16 v121, v41, 0xb770, v56
	;; [unrolled: 1-line block ×5, first 2 shown]
	v_fmac_f16_e32 v51, 0x3bf1, v38
	v_fmac_f16_e32 v68, 0x3a95, v40
	;; [unrolled: 1-line block ×5, first 2 shown]
	v_fma_f16 v40, v14, 0x2fb7, -v60
	v_fma_f16 v41, v13, 0x388b, -v61
	v_fmamk_f16 v61, v15, 0xb5ac, v77
	v_add_f16_e32 v49, v49, v52
	v_add_f16_e32 v129, v129, v130
	v_fmamk_f16 v130, v7, 0xbbc4, v90
	v_add_f16_e32 v50, v0, v50
	v_add_f16_e32 v65, v65, v66
	v_fma_f16 v66, v14, 0xbbc4, -v96
	v_add_f16_e32 v39, v2, v39
	v_add_f16_e32 v71, v71, v72
	v_fmamk_f16 v72, v15, 0x388b, v101
	v_add_f16_e32 v124, v0, v124
	v_add_f16_e32 v136, v2, v136
	;; [unrolled: 1-line block ×3, first 2 shown]
	v_fmamk_f16 v58, v15, 0x3b15, v113
	v_add_f16_e32 v27, v27, v28
	v_add_f16_e32 v22, v22, v26
	v_mul_f16_e32 v63, 0x3770, v47
	v_mul_f16_e32 v73, 0xb94e, v45
	;; [unrolled: 1-line block ×8, first 2 shown]
	v_fmamk_f16 v122, v42, 0x3b7b, v57
	v_fmamk_f16 v126, v12, 0xbbc4, v62
	;; [unrolled: 1-line block ×3, first 2 shown]
	v_fmac_f16_e32 v70, 0x3bf1, v42
	v_fmac_f16_e32 v57, 0xbb7b, v42
	v_fma_f16 v42, v12, 0xbbc4, -v62
	v_fmamk_f16 v62, v7, 0xb9fd, v78
	v_add_f16_e32 v50, v50, v51
	v_fmamk_f16 v51, v7, 0xb5ac, v102
	v_add_f16_e32 v61, v0, v61
	v_add_f16_e32 v39, v39, v40
	v_fma_f16 v40, v16, 0x388b, -v107
	v_add_f16_e32 v124, v124, v130
	v_fmamk_f16 v130, v7, 0x388b, v114
	v_add_f16_e32 v72, v0, v72
	v_add_f16_e32 v66, v136, v66
	v_fma_f16 v136, v16, 0x3b15, -v43
	v_add_f16_e32 v58, v0, v58
	v_fma_f16 v77, v15, 0xb5ac, -v77
	;; [unrolled: 2-line block ×3, first 2 shown]
	v_add_f16_e32 v25, v25, v27
	v_add_f16_e32 v20, v20, v22
	v_mul_f16_e32 v85, 0x3770, v45
	v_mul_f16_e32 v98, 0x3770, v46
	;; [unrolled: 1-line block ×4, first 2 shown]
	v_fmamk_f16 v127, v11, 0x3b15, v63
	v_fmamk_f16 v137, v13, 0xb9fd, v73
	v_fma_f16 v73, v13, 0xb9fd, -v73
	v_fma_f16 v59, v11, 0x3b15, -v63
	v_fmamk_f16 v63, v5, 0x3b15, v79
	v_add_f16_e32 v61, v61, v62
	v_fma_f16 v62, v14, 0xb5ac, -v108
	v_add_f16_e32 v40, v2, v40
	v_add_f16_e32 v51, v72, v51
	v_fma_f16 v72, v14, 0x388b, -v44
	v_add_f16_e32 v136, v2, v136
	v_add_f16_e32 v58, v58, v130
	v_fmac_f16_e32 v83, 0xb5ac, v16
	v_fmamk_f16 v35, v5, 0xb5ac, v91
	v_fma_f16 v78, v7, 0xb9fd, -v78
	v_add_f16_e32 v77, v0, v77
	v_add_f16_e32 v65, v65, v67
	v_fmamk_f16 v67, v5, 0xbbc4, v103
	v_add_f16_e32 v66, v66, v119
	v_fmamk_f16 v119, v5, 0x2fb7, v115
	v_add_f16_e32 v24, v24, v25
	v_add_f16_e32 v19, v19, v20
	v_mul_f16_e32 v99, 0xba95, v47
	v_mul_f16_e32 v110, 0x394e, v46
	v_fma_f16 v52, v13, 0x3b15, -v85
	v_add_f16_e32 v40, v40, v62
	v_add_f16_e32 v72, v136, v72
	v_fmac_f16_e32 v84, 0xb9fd, v14
	v_add_f16_e32 v83, v2, v83
	v_fmamk_f16 v36, v4, 0x3b15, v92
	v_add_f16_e32 v77, v77, v78
	v_add_f16_e32 v123, v123, v125
	v_fma_f16 v125, v12, 0x3b15, -v98
	v_add_f16_e32 v71, v71, v73
	v_fmamk_f16 v73, v4, 0xb9fd, v104
	v_add_f16_e32 v39, v39, v41
	v_add_f16_e32 v61, v61, v63
	v_fma_f16 v63, v13, 0xbbc4, -v109
	v_add_f16_e32 v35, v124, v35
	v_add_f16_e32 v51, v51, v67
	v_fma_f16 v67, v13, 0x2fb7, -v45
	v_add_f16_e32 v58, v58, v119
	v_fmamk_f16 v119, v4, 0xb5ac, v116
	v_fma_f16 v79, v5, 0x3b15, -v79
	v_fma_f16 v89, v15, 0x2fb7, -v89
	v_add_f16_e32 v23, v23, v24
	v_add_f16_e32 v18, v18, v19
	v_mul_f16_e32 v64, 0xbb7b, v48
	v_mul_f16_e32 v86, 0xbbf1, v46
	;; [unrolled: 1-line block ×4, first 2 shown]
	v_fmamk_f16 v34, v4, 0x2fb7, v80
	v_fmamk_f16 v78, v3, 0x388b, v93
	v_add_f16_e32 v83, v83, v84
	v_add_f16_e32 v129, v129, v131
	v_fma_f16 v131, v11, 0x388b, -v99
	v_add_f16_e32 v33, v33, v52
	v_fma_f16 v52, v12, 0xb9fd, -v110
	v_add_f16_e32 v40, v40, v63
	v_add_f16_e32 v67, v72, v67
	v_fmamk_f16 v72, v3, 0xb9fd, v117
	v_fmac_f16_e32 v85, 0x3b15, v13
	v_add_f16_e32 v77, v77, v79
	v_fma_f16 v80, v4, 0x2fb7, -v80
	v_add_f16_e32 v39, v39, v42
	v_add_f16_e32 v35, v35, v36
	;; [unrolled: 1-line block ×8, first 2 shown]
	v_fma_f16 v23, v7, 0xbbc4, -v90
	v_mul_f16_e32 v87, 0x33a8, v47
	v_mul_f16_e32 v112, 0x3770, v48
	v_fmamk_f16 v128, v6, 0xb5ac, v64
	v_fma_f16 v60, v6, 0xb5ac, -v64
	v_fmamk_f16 v64, v3, 0xbbc4, v81
	v_fma_f16 v62, v12, 0x2fb7, -v86
	v_fmamk_f16 v84, v1, 0xb9fd, v94
	v_add_f16_e32 v135, v135, v137
	v_fma_f16 v137, v6, 0xb9fd, -v100
	v_fma_f16 v124, v11, 0x2fb7, -v111
	v_fmamk_f16 v32, v1, 0xbbc4, v118
	v_add_f16_e32 v83, v83, v85
	v_fma_f16 v81, v3, 0xbbc4, -v81
	v_fmac_f16_e32 v86, 0x2fb7, v12
	v_add_f16_e32 v40, v40, v52
	v_add_f16_e32 v29, v77, v80
	;; [unrolled: 1-line block ×6, first 2 shown]
	v_fma_f16 v23, v5, 0xb5ac, -v91
	v_fma_f16 v130, v11, 0xbbc4, -v87
	;; [unrolled: 1-line block ×3, first 2 shown]
	v_add_f16_e32 v39, v39, v59
	v_add_f16_e32 v40, v40, v124
	;; [unrolled: 1-line block ×6, first 2 shown]
	v_fma_f16 v32, v1, 0x388b, -v82
	v_add_f16_e32 v35, v83, v86
	v_fmac_f16_e32 v87, 0xbbc4, v11
	v_fmac_f16_e32 v95, 0x2fb7, v16
	v_add_f16_e32 v18, v18, v23
	v_fma_f16 v23, v4, 0x3b15, -v92
	v_fma_f16 v36, v15, 0x388b, -v101
	v_fmac_f16_e32 v107, 0x388b, v16
	v_fma_f16 v15, v15, 0x3b15, -v113
	v_fmac_f16_e32 v43, 0x3b15, v16
	v_add_f16_e32 v22, v39, v60
	v_add_f16_e32 v19, v40, v63
	;; [unrolled: 1-line block ×6, first 2 shown]
	v_fma_f16 v23, v3, 0x388b, -v93
	v_add_f16_e32 v36, v0, v36
	v_fma_f16 v39, v7, 0xb5ac, -v102
	v_add_f16_e32 v40, v2, v107
	v_add_f16_e32 v0, v0, v15
	v_fma_f16 v7, v7, 0x388b, -v114
	v_add_f16_e32 v2, v2, v43
	v_fmac_f16_e32 v44, 0x388b, v14
	v_mul_f16_e32 v74, 0x3a95, v46
	v_mul_f16_e32 v46, 0xbb7b, v46
	v_add_f16_e32 v18, v18, v23
	v_add_f16_e32 v23, v36, v39
	v_fma_f16 v36, v5, 0xbbc4, -v103
	v_add_f16_e32 v0, v0, v7
	v_fma_f16 v5, v5, 0x2fb7, -v115
	v_add_f16_e32 v2, v2, v44
	v_fmac_f16_e32 v45, 0x2fb7, v13
	v_mul_f16_e32 v75, 0xbb7b, v47
	v_mul_f16_e32 v47, 0xb94e, v47
	v_fma_f16 v31, v12, 0xb5ac, -v46
	v_fmac_f16_e32 v96, 0xbbc4, v14
	v_add_f16_e32 v23, v23, v36
	v_fma_f16 v36, v4, 0xb9fd, -v104
	v_add_f16_e32 v0, v0, v5
	v_fma_f16 v4, v4, 0xb5ac, -v116
	v_add_f16_e32 v2, v2, v45
	v_fmac_f16_e32 v46, 0xb5ac, v12
	v_fma_f16 v39, v1, 0xb9fd, -v94
	v_fmac_f16_e32 v108, 0xb5ac, v14
	v_mul_f16_e32 v76, 0x3bf1, v48
	v_mul_f16_e32 v88, 0x3a95, v48
	;; [unrolled: 1-line block ×3, first 2 shown]
	v_fma_f16 v79, v11, 0xb9fd, -v47
	v_add_f16_e32 v31, v67, v31
	v_fmamk_f16 v138, v12, 0x388b, v74
	v_fmamk_f16 v37, v11, 0xb5ac, v75
	v_fma_f16 v74, v12, 0x388b, -v74
	v_fma_f16 v75, v11, 0xb5ac, -v75
	v_add_f16_e32 v50, v50, v53
	v_fmamk_f16 v53, v3, 0x2fb7, v105
	v_add_f16_e32 v34, v61, v34
	v_add_f16_e32 v35, v35, v96
	v_fmac_f16_e32 v97, 0xb5ac, v13
	v_fmac_f16_e32 v98, 0x3b15, v12
	;; [unrolled: 1-line block ×3, first 2 shown]
	v_add_f16_e32 v23, v23, v36
	v_fma_f16 v36, v3, 0x2fb7, -v105
	v_fmac_f16_e32 v110, 0xb9fd, v12
	v_fmac_f16_e32 v111, 0x2fb7, v11
	v_add_f16_e32 v0, v0, v4
	v_fma_f16 v4, v3, 0xb9fd, -v117
	v_add_f16_e32 v12, v2, v46
	v_fmac_f16_e32 v47, 0xb9fd, v11
	v_mov_b32_e32 v11, 0
	v_lshlrev_b64 v[2:3], 2, v[8:9]
	v_add_f16_e32 v18, v18, v39
	v_add_f16_e32 v39, v40, v108
	v_fmac_f16_e32 v109, 0xbbc4, v13
	v_fma_f16 v85, v6, 0xbbc4, -v48
	v_add_f16_e32 v33, v33, v62
	v_add_f16_e32 v31, v31, v79
	v_fmamk_f16 v55, v1, 0x388b, v82
	v_fmamk_f16 v41, v1, 0x3b15, v106
	v_add_f16_e32 v50, v50, v54
	v_add_f16_e32 v34, v34, v64
	;; [unrolled: 1-line block ×5, first 2 shown]
	v_fma_f16 v36, v1, 0x3b15, -v106
	v_add_f16_e32 v4, v0, v4
	v_fma_f16 v8, v1, 0xbbc4, -v118
	v_lshlrev_b64 v[0:1], 2, v[10:11]
	v_add_f16_e32 v49, v49, v120
	v_add_f16_e32 v120, v123, v126
	;; [unrolled: 1-line block ×6, first 2 shown]
	v_add_co_u32 v2, vcc_lo, s2, v2
	v_add_f16_e32 v123, v129, v132
	v_add_co_ci_u32_e32 v3, vcc_lo, s3, v3, vcc_lo
	v_fma_f16 v136, v6, 0x388b, -v88
	v_add_f16_e32 v33, v33, v130
	v_add_f16_e32 v31, v31, v85
	;; [unrolled: 1-line block ×6, first 2 shown]
	v_fmamk_f16 v38, v6, 0x2fb7, v76
	v_fma_f16 v76, v6, 0x2fb7, -v76
	v_add_f16_e32 v30, v49, v121
	v_add_f16_e32 v49, v120, v127
	;; [unrolled: 1-line block ×6, first 2 shown]
	v_add_co_u32 v0, vcc_lo, v2, v0
	v_add_f16_e32 v52, v123, v133
	v_add_co_ci_u32_e32 v1, vcc_lo, v3, v1, vcc_lo
	v_pack_b32_f16 v2, v21, v17
	v_add_f16_e32 v33, v33, v136
	v_fmac_f16_e32 v88, 0x388b, v6
	v_add_f16_e32 v9, v12, v47
	v_fmac_f16_e32 v48, 0xbbc4, v6
	v_pack_b32_f16 v3, v31, v24
	v_add_f16_e32 v50, v50, v57
	v_add_f16_e32 v35, v35, v99
	v_fmac_f16_e32 v100, 0xb9fd, v6
	v_fmac_f16_e32 v112, 0x3b15, v6
	v_pack_b32_f16 v6, v19, v34
	v_add_f16_e32 v29, v49, v128
	v_add_f16_e32 v37, v37, v38
	;; [unrolled: 1-line block ×7, first 2 shown]
	global_store_dword v[0:1], v2, off
	global_store_dword v[0:1], v3, off offset:408
	global_store_dword v[0:1], v6, off offset:816
	v_pack_b32_f16 v6, v25, v20
	v_add_f16_e32 v32, v32, v88
	v_add_f16_e32 v4, v4, v8
	;; [unrolled: 1-line block ×3, first 2 shown]
	v_pack_b32_f16 v9, v33, v27
	v_add_co_u32 v2, vcc_lo, 0x800, v0
	v_add_f16_e32 v35, v35, v100
	v_pack_b32_f16 v10, v22, v50
	v_add_f16_e32 v5, v23, v36
	v_add_f16_e32 v7, v7, v112
	v_pack_b32_f16 v11, v49, v38
	v_add_co_ci_u32_e32 v3, vcc_lo, 0, v1, vcc_lo
	v_pack_b32_f16 v12, v37, v30
	global_store_dword v[0:1], v6, off offset:1224
	global_store_dword v[0:1], v9, off offset:1632
	;; [unrolled: 1-line block ×5, first 2 shown]
	v_pack_b32_f16 v6, v29, v28
	v_pack_b32_f16 v9, v32, v26
	v_add_co_u32 v0, vcc_lo, 0x1000, v0
	v_pack_b32_f16 v10, v35, v18
	v_pack_b32_f16 v5, v7, v5
	v_add_co_ci_u32_e32 v1, vcc_lo, 0, v1, vcc_lo
	v_pack_b32_f16 v4, v8, v4
	global_store_dword v[2:3], v6, off offset:1216
	global_store_dword v[2:3], v9, off offset:1624
	;; [unrolled: 1-line block ×5, first 2 shown]
.LBB0_27:
	s_endpgm
	.section	.rodata,"a",@progbits
	.p2align	6, 0x0
	.amdhsa_kernel fft_rtc_fwd_len1326_factors_17_6_13_wgs_204_tpt_102_halfLds_half_ip_CI_unitstride_sbrr_dirReg
		.amdhsa_group_segment_fixed_size 0
		.amdhsa_private_segment_fixed_size 0
		.amdhsa_kernarg_size 88
		.amdhsa_user_sgpr_count 6
		.amdhsa_user_sgpr_private_segment_buffer 1
		.amdhsa_user_sgpr_dispatch_ptr 0
		.amdhsa_user_sgpr_queue_ptr 0
		.amdhsa_user_sgpr_kernarg_segment_ptr 1
		.amdhsa_user_sgpr_dispatch_id 0
		.amdhsa_user_sgpr_flat_scratch_init 0
		.amdhsa_user_sgpr_private_segment_size 0
		.amdhsa_wavefront_size32 1
		.amdhsa_uses_dynamic_stack 0
		.amdhsa_system_sgpr_private_segment_wavefront_offset 0
		.amdhsa_system_sgpr_workgroup_id_x 1
		.amdhsa_system_sgpr_workgroup_id_y 0
		.amdhsa_system_sgpr_workgroup_id_z 0
		.amdhsa_system_sgpr_workgroup_info 0
		.amdhsa_system_vgpr_workitem_id 0
		.amdhsa_next_free_vgpr 139
		.amdhsa_next_free_sgpr 21
		.amdhsa_reserve_vcc 1
		.amdhsa_reserve_flat_scratch 0
		.amdhsa_float_round_mode_32 0
		.amdhsa_float_round_mode_16_64 0
		.amdhsa_float_denorm_mode_32 3
		.amdhsa_float_denorm_mode_16_64 3
		.amdhsa_dx10_clamp 1
		.amdhsa_ieee_mode 1
		.amdhsa_fp16_overflow 0
		.amdhsa_workgroup_processor_mode 1
		.amdhsa_memory_ordered 1
		.amdhsa_forward_progress 0
		.amdhsa_shared_vgpr_count 0
		.amdhsa_exception_fp_ieee_invalid_op 0
		.amdhsa_exception_fp_denorm_src 0
		.amdhsa_exception_fp_ieee_div_zero 0
		.amdhsa_exception_fp_ieee_overflow 0
		.amdhsa_exception_fp_ieee_underflow 0
		.amdhsa_exception_fp_ieee_inexact 0
		.amdhsa_exception_int_div_zero 0
	.end_amdhsa_kernel
	.text
.Lfunc_end0:
	.size	fft_rtc_fwd_len1326_factors_17_6_13_wgs_204_tpt_102_halfLds_half_ip_CI_unitstride_sbrr_dirReg, .Lfunc_end0-fft_rtc_fwd_len1326_factors_17_6_13_wgs_204_tpt_102_halfLds_half_ip_CI_unitstride_sbrr_dirReg
                                        ; -- End function
	.section	.AMDGPU.csdata,"",@progbits
; Kernel info:
; codeLenInByte = 13124
; NumSgprs: 23
; NumVgprs: 139
; ScratchSize: 0
; MemoryBound: 0
; FloatMode: 240
; IeeeMode: 1
; LDSByteSize: 0 bytes/workgroup (compile time only)
; SGPRBlocks: 2
; VGPRBlocks: 17
; NumSGPRsForWavesPerEU: 23
; NumVGPRsForWavesPerEU: 139
; Occupancy: 7
; WaveLimiterHint : 1
; COMPUTE_PGM_RSRC2:SCRATCH_EN: 0
; COMPUTE_PGM_RSRC2:USER_SGPR: 6
; COMPUTE_PGM_RSRC2:TRAP_HANDLER: 0
; COMPUTE_PGM_RSRC2:TGID_X_EN: 1
; COMPUTE_PGM_RSRC2:TGID_Y_EN: 0
; COMPUTE_PGM_RSRC2:TGID_Z_EN: 0
; COMPUTE_PGM_RSRC2:TIDIG_COMP_CNT: 0
	.text
	.p2alignl 6, 3214868480
	.fill 48, 4, 3214868480
	.type	__hip_cuid_f9565825023875c7,@object ; @__hip_cuid_f9565825023875c7
	.section	.bss,"aw",@nobits
	.globl	__hip_cuid_f9565825023875c7
__hip_cuid_f9565825023875c7:
	.byte	0                               ; 0x0
	.size	__hip_cuid_f9565825023875c7, 1

	.ident	"AMD clang version 19.0.0git (https://github.com/RadeonOpenCompute/llvm-project roc-6.4.0 25133 c7fe45cf4b819c5991fe208aaa96edf142730f1d)"
	.section	".note.GNU-stack","",@progbits
	.addrsig
	.addrsig_sym __hip_cuid_f9565825023875c7
	.amdgpu_metadata
---
amdhsa.kernels:
  - .args:
      - .actual_access:  read_only
        .address_space:  global
        .offset:         0
        .size:           8
        .value_kind:     global_buffer
      - .offset:         8
        .size:           8
        .value_kind:     by_value
      - .actual_access:  read_only
        .address_space:  global
        .offset:         16
        .size:           8
        .value_kind:     global_buffer
      - .actual_access:  read_only
        .address_space:  global
        .offset:         24
        .size:           8
        .value_kind:     global_buffer
      - .offset:         32
        .size:           8
        .value_kind:     by_value
      - .actual_access:  read_only
        .address_space:  global
        .offset:         40
        .size:           8
        .value_kind:     global_buffer
      - .actual_access:  read_only
        .address_space:  global
        .offset:         48
        .size:           8
        .value_kind:     global_buffer
      - .offset:         56
        .size:           4
        .value_kind:     by_value
      - .actual_access:  read_only
        .address_space:  global
        .offset:         64
        .size:           8
        .value_kind:     global_buffer
      - .actual_access:  read_only
        .address_space:  global
        .offset:         72
        .size:           8
        .value_kind:     global_buffer
      - .address_space:  global
        .offset:         80
        .size:           8
        .value_kind:     global_buffer
    .group_segment_fixed_size: 0
    .kernarg_segment_align: 8
    .kernarg_segment_size: 88
    .language:       OpenCL C
    .language_version:
      - 2
      - 0
    .max_flat_workgroup_size: 204
    .name:           fft_rtc_fwd_len1326_factors_17_6_13_wgs_204_tpt_102_halfLds_half_ip_CI_unitstride_sbrr_dirReg
    .private_segment_fixed_size: 0
    .sgpr_count:     23
    .sgpr_spill_count: 0
    .symbol:         fft_rtc_fwd_len1326_factors_17_6_13_wgs_204_tpt_102_halfLds_half_ip_CI_unitstride_sbrr_dirReg.kd
    .uniform_work_group_size: 1
    .uses_dynamic_stack: false
    .vgpr_count:     139
    .vgpr_spill_count: 0
    .wavefront_size: 32
    .workgroup_processor_mode: 1
amdhsa.target:   amdgcn-amd-amdhsa--gfx1030
amdhsa.version:
  - 1
  - 2
...

	.end_amdgpu_metadata
